;; amdgpu-corpus repo=ROCm/rocFFT kind=compiled arch=gfx950 opt=O3
	.text
	.amdgcn_target "amdgcn-amd-amdhsa--gfx950"
	.amdhsa_code_object_version 6
	.protected	bluestein_single_back_len1617_dim1_dp_op_CI_CI ; -- Begin function bluestein_single_back_len1617_dim1_dp_op_CI_CI
	.globl	bluestein_single_back_len1617_dim1_dp_op_CI_CI
	.p2align	8
	.type	bluestein_single_back_len1617_dim1_dp_op_CI_CI,@function
bluestein_single_back_len1617_dim1_dp_op_CI_CI: ; @bluestein_single_back_len1617_dim1_dp_op_CI_CI
; %bb.0:
	s_load_dwordx4 s[8:11], s[0:1], 0x28
	v_mul_u32_u24_e32 v1, 0x11c, v0
	v_mov_b32_e32 v99, 0
	v_add_u32_sdwa v6, s2, v1 dst_sel:DWORD dst_unused:UNUSED_PAD src0_sel:DWORD src1_sel:WORD_1
	v_mov_b32_e32 v7, v99
	s_waitcnt lgkmcnt(0)
	v_cmp_gt_u64_e32 vcc, s[8:9], v[6:7]
	s_and_saveexec_b64 s[2:3], vcc
	s_cbranch_execz .LBB0_23
; %bb.1:
	s_load_dwordx4 s[4:7], s[0:1], 0x18
	s_load_dwordx2 s[14:15], s[0:1], 0x0
	v_mov_b32_e32 v2, s10
	v_mov_b32_e32 v3, s11
	s_movk_i32 s2, 0xe7
	s_waitcnt lgkmcnt(0)
	s_load_dwordx4 s[8:11], s[4:5], 0x0
	v_mul_lo_u16_sdwa v1, v1, s2 dst_sel:DWORD dst_unused:UNUSED_PAD src0_sel:WORD_1 src1_sel:DWORD
	v_sub_u16_e32 v98, v0, v1
	v_accvgpr_write_b32 a16, v6
	v_lshlrev_b32_e32 v156, 4, v98
	s_waitcnt lgkmcnt(0)
	v_mad_u64_u32 v[0:1], s[2:3], s10, v6, 0
	v_mov_b32_e32 v4, v1
	v_mad_u64_u32 v[4:5], s[2:3], s11, v6, v[4:5]
	v_mov_b32_e32 v1, v4
	v_mad_u64_u32 v[4:5], s[2:3], s8, v98, 0
	v_mov_b32_e32 v6, v5
	v_mad_u64_u32 v[6:7], s[2:3], s9, v98, v[6:7]
	s_mul_i32 s2, s9, 0x21b
	s_mul_hi_u32 s3, s8, 0x21b
	v_mov_b32_e32 v5, v6
	v_lshl_add_u64 v[0:1], v[0:1], 4, v[2:3]
	v_mov_b32_e32 v157, v99
	s_add_i32 s3, s3, s2
	s_mul_i32 s2, s8, 0x21b
	v_lshl_add_u64 v[0:1], v[4:5], 4, v[0:1]
	v_lshl_add_u64 v[200:201], s[14:15], 0, v[156:157]
	s_lshl_b64 s[2:3], s[2:3], 4
	s_movk_i32 s4, 0x2000
	v_lshl_add_u64 v[2:3], v[0:1], 0, s[2:3]
	global_load_dwordx4 v[4:7], v[0:1], off
	global_load_dwordx4 v[8:11], v[2:3], off
	v_add_co_u32_e32 v0, vcc, s4, v200
	s_movk_i32 s4, 0x4000
	s_nop 0
	v_addc_co_u32_e32 v1, vcc, 0, v201, vcc
	s_mul_hi_u32 s5, s8, 0xfffffcb1
	global_load_dwordx4 v[32:35], v[0:1], off offset:432
	v_lshl_add_u64 v[0:1], v[2:3], 0, s[2:3]
	v_add_co_u32_e32 v2, vcc, s4, v200
	s_mul_i32 s4, s9, 0xfffffcb1
	s_sub_i32 s5, s5, s8
	v_addc_co_u32_e32 v3, vcc, 0, v201, vcc
	s_add_i32 s17, s5, s4
	s_mul_i32 s16, s8, 0xfffffcb1
	global_load_dwordx4 v[12:15], v[0:1], off
	global_load_dwordx4 v[36:39], v[2:3], off offset:864
	global_load_dwordx4 v[52:55], v156, s[14:15]
	v_lshl_add_u64 v[0:1], s[16:17], 4, v[0:1]
	s_movk_i32 s4, 0x3000
	global_load_dwordx4 v[40:43], v156, s[14:15] offset:3696
	v_lshl_add_u64 v[2:3], v[0:1], 0, s[2:3]
	global_load_dwordx4 v[16:19], v[0:1], off
	global_load_dwordx4 v[20:23], v[2:3], off
	v_add_co_u32_e32 v0, vcc, s4, v200
	s_movk_i32 s4, 0x5000
	s_nop 0
	v_addc_co_u32_e32 v1, vcc, 0, v201, vcc
	v_add_co_u32_e32 v28, vcc, s4, v200
	global_load_dwordx4 v[44:47], v[0:1], off offset:32
	s_nop 0
	v_addc_co_u32_e32 v29, vcc, 0, v201, vcc
	v_lshl_add_u64 v[2:3], v[2:3], 0, s[2:3]
	global_load_dwordx4 v[48:51], v[28:29], off offset:464
	global_load_dwordx4 v[24:27], v[2:3], off
	s_load_dwordx2 s[12:13], s[0:1], 0x38
	s_load_dwordx4 s[8:11], s[6:7], 0x0
	s_movk_i32 s4, 0x4d
	v_cmp_gt_u16_e64 s[4:5], s4, v98
	s_waitcnt vmcnt(9)
	v_accvgpr_write_b32 a4, v32
	v_accvgpr_write_b32 a5, v33
	;; [unrolled: 1-line block ×4, first 2 shown]
	s_waitcnt vmcnt(7)
	v_accvgpr_write_b32 a8, v36
	s_waitcnt vmcnt(6)
	v_mul_f64 v[28:29], v[6:7], v[54:55]
	v_mul_f64 v[30:31], v[4:5], v[54:55]
	v_fmac_f64_e32 v[28:29], v[4:5], v[52:53]
	v_fma_f64 v[30:31], v[6:7], v[52:53], -v[30:31]
	v_mul_f64 v[4:5], v[10:11], v[34:35]
	v_mul_f64 v[6:7], v[8:9], v[34:35]
	v_fmac_f64_e32 v[4:5], v[8:9], v[32:33]
	v_fma_f64 v[6:7], v[10:11], v[32:33], -v[6:7]
	v_mul_f64 v[8:9], v[14:15], v[38:39]
	v_mul_f64 v[10:11], v[12:13], v[38:39]
	ds_write_b128 v156, v[4:7] offset:8624
	s_waitcnt vmcnt(4)
	v_mul_f64 v[4:5], v[18:19], v[42:43]
	v_mul_f64 v[6:7], v[16:17], v[42:43]
	v_fmac_f64_e32 v[8:9], v[12:13], v[36:37]
	v_fma_f64 v[10:11], v[14:15], v[36:37], -v[10:11]
	v_fmac_f64_e32 v[4:5], v[16:17], v[40:41]
	v_fma_f64 v[6:7], v[18:19], v[40:41], -v[6:7]
	v_accvgpr_write_b32 a26, v52
	ds_write_b128 v156, v[8:11] offset:17248
	v_accvgpr_write_b32 a12, v40
	s_waitcnt vmcnt(2)
	v_mul_f64 v[8:9], v[22:23], v[46:47]
	v_mul_f64 v[10:11], v[20:21], v[46:47]
	ds_write_b128 v156, v[4:7] offset:3696
	v_accvgpr_write_b32 a18, v44
	s_waitcnt vmcnt(0)
	v_mul_f64 v[4:5], v[26:27], v[50:51]
	v_mul_f64 v[6:7], v[24:25], v[50:51]
	v_accvgpr_write_b32 a22, v48
	v_accvgpr_write_b32 a27, v53
	;; [unrolled: 1-line block ×10, first 2 shown]
	v_fmac_f64_e32 v[8:9], v[20:21], v[44:45]
	v_accvgpr_write_b32 a19, v45
	v_accvgpr_write_b32 a20, v46
	;; [unrolled: 1-line block ×3, first 2 shown]
	v_fma_f64 v[10:11], v[22:23], v[44:45], -v[10:11]
	v_fmac_f64_e32 v[4:5], v[24:25], v[48:49]
	v_accvgpr_write_b32 a23, v49
	v_accvgpr_write_b32 a24, v50
	;; [unrolled: 1-line block ×3, first 2 shown]
	v_fma_f64 v[6:7], v[26:27], v[48:49], -v[6:7]
	ds_write_b128 v156, v[28:31]
	ds_write_b128 v156, v[8:11] offset:12320
	ds_write_b128 v156, v[4:7] offset:20944
	s_and_saveexec_b64 s[6:7], s[4:5]
	s_cbranch_execz .LBB0_3
; %bb.2:
	v_lshl_add_u64 v[10:11], s[16:17], 4, v[2:3]
	v_add_co_u32_e32 v6, vcc, 0x1000, v200
	v_lshl_add_u64 v[18:19], v[10:11], 0, s[2:3]
	s_nop 0
	v_addc_co_u32_e32 v7, vcc, 0, v201, vcc
	global_load_dwordx4 v[2:5], v[10:11], off
	s_nop 0
	global_load_dwordx4 v[6:9], v[6:7], off offset:3296
	s_nop 0
	global_load_dwordx4 v[10:13], v[18:19], off
	global_load_dwordx4 v[14:17], v[0:1], off offset:3728
	v_lshl_add_u64 v[0:1], v[18:19], 0, s[2:3]
	s_movk_i32 s2, 0x6000
	v_add_co_u32_e32 v26, vcc, s2, v200
	s_nop 1
	v_addc_co_u32_e32 v27, vcc, 0, v201, vcc
	global_load_dwordx4 v[18:21], v[26:27], off offset:64
	global_load_dwordx4 v[22:25], v[0:1], off
	s_waitcnt vmcnt(4)
	v_mul_f64 v[0:1], v[4:5], v[8:9]
	v_mul_f64 v[26:27], v[2:3], v[8:9]
	v_fmac_f64_e32 v[0:1], v[2:3], v[6:7]
	v_fma_f64 v[2:3], v[4:5], v[6:7], -v[26:27]
	s_waitcnt vmcnt(2)
	v_mul_f64 v[8:9], v[12:13], v[16:17]
	v_mul_f64 v[16:17], v[10:11], v[16:17]
	v_fmac_f64_e32 v[8:9], v[10:11], v[14:15]
	v_fma_f64 v[10:11], v[12:13], v[14:15], -v[16:17]
	ds_write_b128 v156, v[0:3] offset:7392
	ds_write_b128 v156, v[8:11] offset:16016
	s_waitcnt vmcnt(0)
	v_mul_f64 v[4:5], v[24:25], v[20:21]
	v_mul_f64 v[6:7], v[22:23], v[20:21]
	v_fmac_f64_e32 v[4:5], v[22:23], v[18:19]
	v_fma_f64 v[6:7], v[24:25], v[18:19], -v[6:7]
	ds_write_b128 v156, v[4:7] offset:24640
.LBB0_3:
	s_or_b64 exec, exec, s[6:7]
	s_waitcnt lgkmcnt(0)
	s_barrier
	ds_read_b128 v[36:39], v156
	ds_read_b128 v[28:31], v156 offset:3696
	ds_read_b128 v[52:55], v156 offset:8624
	;; [unrolled: 1-line block ×5, first 2 shown]
	s_load_dwordx2 s[0:1], s[0:1], 0x8
                                        ; implicit-def: $vgpr24_vgpr25
                                        ; implicit-def: $vgpr32_vgpr33
                                        ; implicit-def: $vgpr40_vgpr41
	s_and_saveexec_b64 s[2:3], s[4:5]
	s_cbranch_execz .LBB0_5
; %bb.4:
	ds_read_b128 v[24:27], v156 offset:7392
	ds_read_b128 v[32:35], v156 offset:16016
	;; [unrolled: 1-line block ×3, first 2 shown]
.LBB0_5:
	s_or_b64 exec, exec, s[2:3]
	s_mov_b64 s[2:3], 0x1ce
	v_lshl_add_u64 v[16:17], v[98:99], 0, s[2:3]
	s_waitcnt lgkmcnt(0)
	v_add_f64 v[2:3], v[52:53], v[56:57]
	s_mov_b32 s2, 0xe8584caa
	v_add_f64 v[0:1], v[36:37], v[52:53]
	v_fmac_f64_e32 v[36:37], -0.5, v[2:3]
	v_add_f64 v[2:3], v[54:55], -v[58:59]
	s_mov_b32 s3, 0x3febb67a
	s_mov_b32 s7, 0xbfebb67a
	;; [unrolled: 1-line block ×3, first 2 shown]
	v_add_f64 v[6:7], v[54:55], v[58:59]
	v_fma_f64 v[4:5], s[2:3], v[2:3], v[36:37]
	v_fmac_f64_e32 v[36:37], s[6:7], v[2:3]
	v_add_f64 v[2:3], v[38:39], v[54:55]
	v_fmac_f64_e32 v[38:39], -0.5, v[6:7]
	v_add_f64 v[8:9], v[52:53], -v[56:57]
	v_add_f64 v[10:11], v[44:45], v[48:49]
	v_fma_f64 v[6:7], s[6:7], v[8:9], v[38:39]
	v_fmac_f64_e32 v[38:39], s[2:3], v[8:9]
	v_add_f64 v[8:9], v[28:29], v[44:45]
	v_fmac_f64_e32 v[28:29], -0.5, v[10:11]
	v_add_f64 v[10:11], v[46:47], -v[50:51]
	;; [unrolled: 6-line block ×3, first 2 shown]
	v_fma_f64 v[14:15], s[6:7], v[18:19], v[30:31]
	v_fmac_f64_e32 v[30:31], s[2:3], v[18:19]
	v_add_f64 v[18:19], v[32:33], v[40:41]
	v_fma_f64 v[116:117], -0.5, v[18:19], v[24:25]
	v_add_f64 v[18:19], v[34:35], -v[42:43]
	v_mul_lo_u16_e32 v17, 3, v98
	v_add_u32_e32 v20, 0xe7, v98
	v_add_f64 v[0:1], v[0:1], v[56:57]
	v_add_f64 v[2:3], v[2:3], v[58:59]
	v_fma_f64 v[112:113], s[2:3], v[18:19], v[116:117]
	v_fmac_f64_e32 v[116:117], s[6:7], v[18:19]
	v_add_f64 v[18:19], v[34:35], v[42:43]
	v_lshlrev_b32_e32 v99, 4, v17
	v_fma_f64 v[118:119], -0.5, v[18:19], v[26:27]
	v_add_f64 v[18:19], v[32:33], -v[40:41]
	s_barrier
	ds_write_b128 v99, v[0:3]
	ds_write_b128 v99, v[4:7] offset:16
	ds_write_b128 v99, v[36:39] offset:32
	v_mul_u32_u24_e32 v0, 3, v20
	v_add_f64 v[8:9], v[8:9], v[48:49]
	v_add_f64 v[10:11], v[10:11], v[50:51]
	v_fma_f64 v[114:115], s[6:7], v[18:19], v[118:119]
	v_fmac_f64_e32 v[118:119], s[2:3], v[18:19]
	v_lshlrev_b32_e32 v100, 4, v0
	v_mul_u32_u24_e32 v101, 3, v16
	ds_write_b128 v100, v[8:11]
	ds_write_b128 v100, v[12:15] offset:16
	ds_write_b128 v100, v[28:31] offset:32
	s_and_saveexec_b64 s[2:3], s[4:5]
	s_cbranch_execz .LBB0_7
; %bb.6:
	v_add_f64 v[0:1], v[26:27], v[34:35]
	v_add_f64 v[2:3], v[0:1], v[42:43]
	;; [unrolled: 1-line block ×4, first 2 shown]
	v_lshlrev_b32_e32 v4, 4, v101
	ds_write_b128 v4, v[0:3]
	ds_write_b128 v4, v[112:115] offset:16
	ds_write_b128 v4, v[116:119] offset:32
.LBB0_7:
	s_or_b64 exec, exec, s[2:3]
	s_movk_i32 s2, 0xab
	v_mul_lo_u16_sdwa v0, v98, s2 dst_sel:DWORD dst_unused:UNUSED_PAD src0_sel:BYTE_0 src1_sel:DWORD
	v_lshrrev_b16_e32 v76, 9, v0
	v_mul_lo_u16_e32 v0, 3, v76
	v_sub_u16_e32 v0, v98, v0
	v_and_b32_e32 v77, 0xff, v0
	v_mul_u32_u24_e32 v0, 6, v77
	v_lshlrev_b32_e32 v0, 4, v0
	s_waitcnt lgkmcnt(0)
	s_barrier
	global_load_dwordx4 v[36:39], v0, s[0:1]
	global_load_dwordx4 v[32:35], v0, s[0:1] offset:16
	global_load_dwordx4 v[28:31], v0, s[0:1] offset:32
	;; [unrolled: 1-line block ×5, first 2 shown]
	ds_read_b128 v[0:3], v156
	ds_read_b128 v[4:7], v156 offset:3696
	ds_read_b128 v[8:11], v156 offset:7392
	;; [unrolled: 1-line block ×6, first 2 shown]
	s_mov_b32 s6, 0x37e14327
	s_mov_b32 s2, 0x36b3c0b5
	;; [unrolled: 1-line block ×20, first 2 shown]
	s_movk_i32 s33, 0x87
	s_waitcnt lgkmcnt(0)
	s_barrier
	s_waitcnt lgkmcnt(0)
                                        ; implicit-def: $vgpr148_vgpr149
                                        ; implicit-def: $vgpr152_vgpr153
	s_waitcnt vmcnt(5)
	v_mul_f64 v[52:53], v[6:7], v[38:39]
	v_mul_f64 v[54:55], v[4:5], v[38:39]
	s_waitcnt vmcnt(4)
	v_mul_f64 v[56:57], v[10:11], v[34:35]
	s_waitcnt vmcnt(3)
	v_mul_f64 v[60:61], v[14:15], v[30:31]
	v_mul_f64 v[62:63], v[12:13], v[30:31]
	s_waitcnt vmcnt(1)
	v_mul_f64 v[68:69], v[22:23], v[46:47]
	s_waitcnt vmcnt(0)
	v_mul_f64 v[72:73], v[50:51], v[42:43]
	v_mul_f64 v[58:59], v[8:9], v[34:35]
	;; [unrolled: 1-line block ×5, first 2 shown]
	v_fma_f64 v[4:5], v[4:5], v[36:37], -v[52:53]
	v_fmac_f64_e32 v[54:55], v[6:7], v[36:37]
	v_fma_f64 v[6:7], v[8:9], v[32:33], -v[56:57]
	v_fma_f64 v[8:9], v[12:13], v[28:29], -v[60:61]
	v_fmac_f64_e32 v[62:63], v[14:15], v[28:29]
	v_fma_f64 v[12:13], v[20:21], v[44:45], -v[68:69]
	v_fma_f64 v[14:15], v[48:49], v[40:41], -v[72:73]
	v_mul_f64 v[66:67], v[16:17], v[26:27]
	v_fmac_f64_e32 v[58:59], v[10:11], v[32:33]
	v_fma_f64 v[10:11], v[16:17], v[24:25], -v[64:65]
	v_fmac_f64_e32 v[70:71], v[22:23], v[44:45]
	v_fmac_f64_e32 v[74:75], v[50:51], v[40:41]
	v_add_f64 v[16:17], v[4:5], v[14:15]
	v_add_f64 v[20:21], v[6:7], v[12:13]
	v_fmac_f64_e32 v[66:67], v[18:19], v[24:25]
	v_add_f64 v[18:19], v[54:55], v[74:75]
	v_add_f64 v[22:23], v[58:59], v[70:71]
	;; [unrolled: 1-line block ×4, first 2 shown]
	v_add_f64 v[4:5], v[4:5], -v[14:15]
	v_add_f64 v[14:15], v[54:55], -v[74:75]
	v_add_f64 v[50:51], v[62:63], v[66:67]
	v_add_f64 v[54:55], v[22:23], v[18:19]
	v_add_f64 v[56:57], v[20:21], -v[16:17]
	v_add_f64 v[16:17], v[16:17], -v[48:49]
	;; [unrolled: 1-line block ×3, first 2 shown]
	v_add_f64 v[48:49], v[48:49], v[52:53]
	v_add_f64 v[6:7], v[6:7], -v[12:13]
	v_add_f64 v[12:13], v[58:59], -v[70:71]
	;; [unrolled: 1-line block ×5, first 2 shown]
	v_add_f64 v[50:51], v[50:51], v[54:55]
	v_add_f64 v[0:1], v[0:1], v[48:49]
	v_add_f64 v[8:9], v[10:11], -v[8:9]
	v_add_f64 v[10:11], v[66:67], -v[62:63]
	v_add_f64 v[2:3], v[2:3], v[50:51]
	v_mov_b64_e32 v[68:69], v[0:1]
	v_add_f64 v[60:61], v[8:9], v[6:7]
	v_add_f64 v[62:63], v[10:11], v[12:13]
	v_add_f64 v[64:65], v[8:9], -v[6:7]
	v_add_f64 v[66:67], v[10:11], -v[12:13]
	;; [unrolled: 1-line block ×4, first 2 shown]
	v_mul_f64 v[16:17], v[16:17], s[6:7]
	v_mul_f64 v[18:19], v[18:19], s[6:7]
	;; [unrolled: 1-line block ×4, first 2 shown]
	v_fmac_f64_e32 v[68:69], s[28:29], v[48:49]
	v_mov_b64_e32 v[48:49], v[2:3]
	v_add_f64 v[8:9], v[4:5], -v[8:9]
	v_add_f64 v[10:11], v[14:15], -v[10:11]
	v_add_f64 v[4:5], v[60:61], v[4:5]
	v_add_f64 v[14:15], v[62:63], v[14:15]
	v_mul_f64 v[60:61], v[64:65], s[16:17]
	v_mul_f64 v[62:63], v[66:67], s[16:17]
	;; [unrolled: 1-line block ×4, first 2 shown]
	v_fmac_f64_e32 v[48:49], s[28:29], v[50:51]
	v_fma_f64 v[50:51], v[56:57], s[30:31], -v[52:53]
	v_fma_f64 v[52:53], v[58:59], s[30:31], -v[54:55]
	;; [unrolled: 1-line block ×3, first 2 shown]
	v_fmac_f64_e32 v[16:17], s[2:3], v[20:21]
	v_fma_f64 v[20:21], v[58:59], s[22:23], -v[18:19]
	v_fmac_f64_e32 v[18:19], s[2:3], v[22:23]
	v_fma_f64 v[22:23], v[6:7], s[18:19], -v[60:61]
	;; [unrolled: 2-line block ×4, first 2 shown]
	v_fma_f64 v[64:65], v[10:11], s[26:27], -v[66:67]
	v_add_f64 v[70:71], v[18:19], v[48:49]
	v_add_f64 v[18:19], v[52:53], v[48:49]
	v_mul_u32_u24_e32 v52, 21, v76
	v_add_f64 v[66:67], v[16:17], v[68:69]
	v_add_f64 v[16:17], v[50:51], v[68:69]
	v_add_f64 v[50:51], v[54:55], v[68:69]
	v_add_f64 v[48:49], v[20:21], v[48:49]
	v_fmac_f64_e32 v[60:61], s[24:25], v[4:5]
	v_fmac_f64_e32 v[62:63], s[24:25], v[14:15]
	v_fmac_f64_e32 v[22:23], s[24:25], v[4:5]
	v_fmac_f64_e32 v[56:57], s[24:25], v[14:15]
	v_fmac_f64_e32 v[58:59], s[24:25], v[4:5]
	v_fmac_f64_e32 v[64:65], s[24:25], v[14:15]
	v_add_lshl_u32 v157, v52, v77, 4
	v_add_f64 v[4:5], v[62:63], v[66:67]
	v_add_f64 v[6:7], v[70:71], -v[60:61]
	v_add_f64 v[8:9], v[64:65], v[50:51]
	v_add_f64 v[10:11], v[48:49], -v[58:59]
	v_add_f64 v[12:13], v[16:17], -v[56:57]
	v_add_f64 v[14:15], v[22:23], v[18:19]
	v_add_f64 v[16:17], v[56:57], v[16:17]
	v_add_f64 v[18:19], v[18:19], -v[22:23]
	v_add_f64 v[20:21], v[50:51], -v[64:65]
	v_add_f64 v[22:23], v[58:59], v[48:49]
	v_add_f64 v[48:49], v[66:67], -v[62:63]
	v_add_f64 v[50:51], v[60:61], v[70:71]
	ds_write_b128 v157, v[0:3]
	ds_write_b128 v157, v[4:7] offset:48
	ds_write_b128 v157, v[8:11] offset:96
	;; [unrolled: 1-line block ×6, first 2 shown]
	v_mul_lo_u16_sdwa v0, v98, s33 dst_sel:DWORD dst_unused:UNUSED_PAD src0_sel:BYTE_0 src1_sel:DWORD
	v_sub_u16_sdwa v1, v98, v0 dst_sel:DWORD dst_unused:UNUSED_PAD src0_sel:DWORD src1_sel:BYTE_1
	v_lshrrev_b16_e32 v1, 1, v1
	v_and_b32_e32 v1, 0x7f, v1
	v_add_u16_sdwa v0, v1, v0 dst_sel:DWORD dst_unused:UNUSED_PAD src0_sel:DWORD src1_sel:BYTE_1
	v_lshrrev_b16_e32 v0, 4, v0
	v_and_b32_e32 v96, 15, v0
	v_mul_lo_u16_e32 v0, 21, v96
	v_sub_u16_e32 v0, v98, v0
	v_and_b32_e32 v97, 0xff, v0
	s_movk_i32 s33, 0x60
	v_mov_b64_e32 v[0:1], s[0:1]
	v_mad_u64_u32 v[0:1], s[34:35], v97, s33, v[0:1]
	s_waitcnt lgkmcnt(0)
	s_barrier
	global_load_dwordx4 v[60:63], v[0:1], off offset:288
	global_load_dwordx4 v[56:59], v[0:1], off offset:304
	;; [unrolled: 1-line block ×6, first 2 shown]
	ds_read_b128 v[0:3], v156 offset:3696
	ds_read_b128 v[4:7], v156 offset:7392
	;; [unrolled: 1-line block ×5, first 2 shown]
	ds_read_b128 v[20:23], v156
	s_waitcnt vmcnt(5) lgkmcnt(5)
	v_mul_f64 v[72:73], v[2:3], v[62:63]
	v_fma_f64 v[72:73], v[0:1], v[60:61], -v[72:73]
	v_mul_f64 v[74:75], v[0:1], v[62:63]
	s_waitcnt vmcnt(4) lgkmcnt(4)
	v_mul_f64 v[0:1], v[6:7], v[58:59]
	v_fma_f64 v[76:77], v[4:5], v[56:57], -v[0:1]
	v_mul_f64 v[4:5], v[4:5], v[58:59]
	s_waitcnt vmcnt(3) lgkmcnt(3)
	v_mul_f64 v[0:1], v[10:11], v[54:55]
	v_fmac_f64_e32 v[4:5], v[6:7], v[56:57]
	v_fma_f64 v[6:7], v[8:9], v[52:53], -v[0:1]
	v_mul_f64 v[8:9], v[8:9], v[54:55]
	s_waitcnt vmcnt(2) lgkmcnt(2)
	v_mul_f64 v[0:1], v[14:15], v[50:51]
	v_fmac_f64_e32 v[74:75], v[2:3], v[60:61]
	v_fmac_f64_e32 v[8:9], v[10:11], v[52:53]
	v_fma_f64 v[10:11], v[12:13], v[48:49], -v[0:1]
	ds_read_b128 v[0:3], v156 offset:22176
	v_mul_f64 v[12:13], v[12:13], v[50:51]
	v_fmac_f64_e32 v[12:13], v[14:15], v[48:49]
	s_waitcnt vmcnt(1) lgkmcnt(2)
	v_mul_f64 v[14:15], v[18:19], v[66:67]
	v_fma_f64 v[14:15], v[16:17], v[64:65], -v[14:15]
	v_mul_f64 v[16:17], v[16:17], v[66:67]
	v_fmac_f64_e32 v[16:17], v[18:19], v[64:65]
	s_waitcnt vmcnt(0) lgkmcnt(0)
	v_mul_f64 v[18:19], v[2:3], v[70:71]
	v_fma_f64 v[18:19], v[0:1], v[68:69], -v[18:19]
	v_mul_f64 v[0:1], v[0:1], v[70:71]
	v_fmac_f64_e32 v[0:1], v[2:3], v[68:69]
	v_add_f64 v[2:3], v[72:73], v[18:19]
	v_add_f64 v[78:79], v[76:77], v[14:15]
	;; [unrolled: 1-line block ×4, first 2 shown]
	v_add_f64 v[4:5], v[4:5], -v[16:17]
	v_add_f64 v[8:9], v[12:13], -v[8:9]
	v_add_f64 v[80:81], v[6:7], v[10:11]
	v_add_f64 v[82:83], v[78:79], v[2:3]
	;; [unrolled: 1-line block ×3, first 2 shown]
	v_add_f64 v[0:1], v[74:75], -v[0:1]
	v_add_f64 v[14:15], v[76:77], -v[14:15]
	;; [unrolled: 1-line block ×3, first 2 shown]
	v_add_f64 v[82:83], v[80:81], v[82:83]
	v_add_f64 v[90:91], v[86:87], v[84:85]
	v_add_f64 v[6:7], v[10:11], -v[6:7]
	v_add_f64 v[10:11], v[78:79], -v[2:3]
	;; [unrolled: 1-line block ×3, first 2 shown]
	v_add_f64 v[74:75], v[8:9], v[4:5]
	v_add_f64 v[4:5], v[4:5], -v[0:1]
	v_mul_f64 v[76:77], v[76:77], s[16:17]
	v_add_f64 v[2:3], v[2:3], -v[80:81]
	v_add_f64 v[90:91], v[88:89], v[90:91]
	v_add_f64 v[120:121], v[20:21], v[82:83]
	v_add_f64 v[18:19], v[72:73], -v[18:19]
	v_add_f64 v[16:17], v[86:87], -v[84:85]
	;; [unrolled: 1-line block ×4, first 2 shown]
	v_add_f64 v[74:75], v[74:75], v[0:1]
	v_mul_f64 v[86:87], v[12:13], s[2:3]
	v_fma_f64 v[94:95], v[4:5], s[18:19], -v[76:77]
	v_add_f64 v[0:1], v[0:1], -v[8:9]
	v_mul_f64 v[2:3], v[2:3], s[6:7]
	v_mul_f64 v[4:5], v[4:5], s[18:19]
	v_add_f64 v[122:123], v[22:23], v[90:91]
	v_add_f64 v[22:23], v[6:7], v[14:15]
	v_add_f64 v[14:15], v[14:15], -v[18:19]
	v_mul_f64 v[72:73], v[72:73], s[16:17]
	v_fma_f64 v[78:79], s[28:29], v[82:83], v[120:121]
	v_fma_f64 v[86:87], v[10:11], s[30:31], -v[86:87]
	v_add_f64 v[80:81], v[84:85], -v[88:89]
	v_fma_f64 v[10:11], v[10:11], s[22:23], -v[2:3]
	v_fma_f64 v[4:5], v[0:1], s[26:27], -v[4:5]
	v_fma_f64 v[82:83], s[28:29], v[90:91], v[122:123]
	v_mul_f64 v[90:91], v[20:21], s[2:3]
	v_fma_f64 v[92:93], v[14:15], s[18:19], -v[72:73]
	v_add_f64 v[6:7], v[18:19], -v[6:7]
	v_mul_f64 v[8:9], v[80:81], s[6:7]
	v_mul_f64 v[14:15], v[14:15], s[18:19]
	v_add_f64 v[10:11], v[10:11], v[78:79]
	v_fmac_f64_e32 v[4:5], s[24:25], v[74:75]
	v_fma_f64 v[2:3], s[2:3], v[12:13], v[2:3]
	v_fmac_f64_e32 v[76:77], s[20:21], v[0:1]
	v_add_f64 v[22:23], v[22:23], v[18:19]
	v_fma_f64 v[90:91], v[16:17], s[30:31], -v[90:91]
	v_fma_f64 v[16:17], v[16:17], s[22:23], -v[8:9]
	;; [unrolled: 1-line block ×3, first 2 shown]
	v_add_f64 v[132:133], v[4:5], v[10:11]
	v_add_f64 v[140:141], v[10:11], -v[4:5]
	v_fmac_f64_e32 v[8:9], s[2:3], v[20:21]
	v_fma_f64 v[4:5], s[20:21], v[6:7], v[72:73]
	v_add_f64 v[0:1], v[2:3], v[78:79]
	v_fmac_f64_e32 v[76:77], s[24:25], v[74:75]
	s_movk_i32 s2, 0x93
	v_add_f64 v[86:87], v[86:87], v[78:79]
	v_add_f64 v[90:91], v[90:91], v[82:83]
	v_fmac_f64_e32 v[92:93], s[24:25], v[22:23]
	v_fmac_f64_e32 v[94:95], s[24:25], v[74:75]
	v_add_f64 v[16:17], v[16:17], v[82:83]
	v_fmac_f64_e32 v[14:15], s[24:25], v[22:23]
	v_add_f64 v[2:3], v[8:9], v[82:83]
	;; [unrolled: 2-line block ×3, first 2 shown]
	v_add_f64 v[144:145], v[0:1], -v[76:77]
	v_mul_u32_u24_sdwa v0, v96, s2 dst_sel:DWORD dst_unused:UNUSED_PAD src0_sel:WORD_0 src1_sel:DWORD
	v_add_f64 v[124:125], v[86:87], -v[94:95]
	v_add_f64 v[126:127], v[92:93], v[90:91]
	v_add_f64 v[128:129], v[94:95], v[86:87]
	v_add_f64 v[130:131], v[90:91], -v[92:93]
	v_add_f64 v[134:135], v[16:17], -v[14:15]
	v_add_f64 v[142:143], v[14:15], v[16:17]
	v_add_f64 v[138:139], v[2:3], -v[4:5]
	v_add_f64 v[146:147], v[4:5], v[2:3]
	v_add_lshl_u32 v76, v0, v97, 4
	v_cmp_gt_u16_e64 s[2:3], s2, v98
	s_barrier
	ds_write_b128 v76, v[120:123]
	ds_write_b128 v76, v[136:139] offset:336
	ds_write_b128 v76, v[132:135] offset:672
	;; [unrolled: 1-line block ×6, first 2 shown]
	s_waitcnt lgkmcnt(0)
	s_barrier
	s_and_saveexec_b64 s[6:7], s[2:3]
	s_cbranch_execz .LBB0_9
; %bb.8:
	ds_read_b128 v[120:123], v156
	ds_read_b128 v[136:139], v156 offset:2352
	ds_read_b128 v[132:135], v156 offset:4704
	;; [unrolled: 1-line block ×10, first 2 shown]
.LBB0_9:
	s_or_b64 exec, exec, s[6:7]
	v_add_u32_e32 v0, 0xffffff6d, v98
	v_cndmask_b32_e64 v0, v0, v98, s[2:3]
	v_mul_hi_i32_i24_e32 v1, 0xa0, v0
	v_mul_i32_i24_e32 v0, 0xa0, v0
	v_lshl_add_u64 v[0:1], s[0:1], 0, v[0:1]
	global_load_dwordx4 v[106:109], v[0:1], off offset:2304
	global_load_dwordx4 v[94:97], v[0:1], off offset:2320
	global_load_dwordx4 v[90:93], v[0:1], off offset:2336
	global_load_dwordx4 v[20:23], v[0:1], off offset:2352
	global_load_dwordx4 v[158:161], v[0:1], off offset:2368
	global_load_dwordx4 v[102:105], v[0:1], off offset:2384
	global_load_dwordx4 v[86:89], v[0:1], off offset:2400
	global_load_dwordx4 v[78:81], v[0:1], off offset:2416
	global_load_dwordx4 v[82:85], v[0:1], off offset:2432
	global_load_dwordx4 v[72:75], v[0:1], off offset:2448
	s_mov_b32 s26, 0xf8bb580b
	s_mov_b32 s0, 0x8764f0ba
	;; [unrolled: 1-line block ×26, first 2 shown]
	s_waitcnt vmcnt(9) lgkmcnt(9)
	v_mul_f64 v[164:165], v[136:137], v[108:109]
	v_mul_f64 v[0:1], v[138:139], v[108:109]
	s_waitcnt vmcnt(8) lgkmcnt(8)
	v_mul_f64 v[166:167], v[132:133], v[96:97]
	v_fmac_f64_e32 v[164:165], v[138:139], v[106:107]
	v_mul_f64 v[2:3], v[134:135], v[96:97]
	v_fma_f64 v[136:137], v[136:137], v[106:107], -v[0:1]
	v_fmac_f64_e32 v[166:167], v[134:135], v[94:95]
	s_waitcnt vmcnt(5) lgkmcnt(5)
	v_mul_f64 v[172:173], v[140:141], v[160:161]
	s_waitcnt vmcnt(1) lgkmcnt(1)
	v_mul_f64 v[180:181], v[148:149], v[84:85]
	;; [unrolled: 2-line block ×3, first 2 shown]
	v_mul_f64 v[18:19], v[154:155], v[74:75]
	v_accvgpr_write_b32 a46, v72
	v_fmac_f64_e32 v[184:185], v[154:155], v[72:73]
	v_mul_f64 v[16:17], v[150:151], v[84:85]
	v_accvgpr_write_b32 a54, v82
	v_fmac_f64_e32 v[180:181], v[150:151], v[82:83]
	v_fma_f64 v[150:151], v[152:153], v[72:73], -v[18:19]
	v_accvgpr_write_b32 a47, v73
	v_accvgpr_write_b32 a48, v74
	;; [unrolled: 1-line block ×3, first 2 shown]
	v_add_f64 v[74:75], v[164:165], -v[184:185]
	v_mul_f64 v[10:11], v[146:147], v[104:105]
	v_mul_f64 v[174:175], v[144:145], v[104:105]
	;; [unrolled: 1-line block ×6, first 2 shown]
	v_fma_f64 v[138:139], v[132:133], v[94:95], -v[2:3]
	v_accvgpr_write_b32 a58, v86
	v_accvgpr_write_b32 a50, v78
	v_fma_f64 v[148:149], v[148:149], v[82:83], -v[16:17]
	v_accvgpr_write_b32 a55, v83
	v_accvgpr_write_b32 a56, v84
	;; [unrolled: 1-line block ×3, first 2 shown]
	v_add_f64 v[210:211], v[136:137], v[150:151]
	v_add_f64 v[72:73], v[136:137], -v[150:151]
	v_mul_f64 v[84:85], v[74:75], s[26:27]
	v_add_f64 v[132:133], v[166:167], -v[180:181]
	v_mul_f64 v[168:169], v[124:125], v[92:93]
	v_mul_f64 v[8:9], v[142:143], v[160:161]
	v_fmac_f64_e32 v[172:173], v[142:143], v[158:159]
	v_fma_f64 v[142:143], v[144:145], v[102:103], -v[10:11]
	v_fmac_f64_e32 v[174:175], v[146:147], v[102:103]
	v_fma_f64 v[144:145], v[112:113], v[86:87], -v[12:13]
	v_accvgpr_write_b32 a59, v87
	v_accvgpr_write_b32 a60, v88
	;; [unrolled: 1-line block ×3, first 2 shown]
	v_fmac_f64_e32 v[176:177], v[114:115], v[86:87]
	v_fma_f64 v[146:147], v[116:117], v[78:79], -v[14:15]
	v_accvgpr_write_b32 a51, v79
	v_accvgpr_write_b32 a52, v80
	v_accvgpr_write_b32 a53, v81
	v_fmac_f64_e32 v[178:179], v[118:119], v[78:79]
	v_add_f64 v[212:213], v[164:165], v[184:185]
	v_mul_f64 v[86:87], v[72:73], s[26:27]
	v_fma_f64 v[0:1], s[0:1], v[210:211], v[84:85]
	v_add_f64 v[220:221], v[138:139], v[148:149]
	v_add_f64 v[78:79], v[138:139], -v[148:149]
	v_mul_f64 v[110:111], v[132:133], s[22:23]
	v_fmac_f64_e32 v[168:169], v[126:127], v[90:91]
	v_fma_f64 v[140:141], v[140:141], v[158:159], -v[8:9]
	v_accvgpr_write_b32 a66, v158
	v_fma_f64 v[2:3], v[212:213], s[0:1], -v[86:87]
	v_add_f64 v[0:1], v[120:121], v[0:1]
	v_add_f64 v[222:223], v[166:167], v[180:181]
	v_mul_f64 v[10:11], v[78:79], s[22:23]
	v_fma_f64 v[8:9], s[6:7], v[220:221], v[110:111]
	v_mul_f64 v[4:5], v[126:127], v[92:93]
	v_accvgpr_write_b32 a67, v159
	v_accvgpr_write_b32 a68, v160
	;; [unrolled: 1-line block ×3, first 2 shown]
	v_add_f64 v[2:3], v[122:123], v[2:3]
	v_add_f64 v[0:1], v[8:9], v[0:1]
	v_fma_f64 v[8:9], v[222:223], s[6:7], -v[10:11]
	v_add_f64 v[160:161], v[168:169], -v[178:179]
	v_mul_f64 v[170:171], v[128:129], v[22:23]
	v_fma_f64 v[182:183], v[124:125], v[90:91], -v[4:5]
	v_add_f64 v[2:3], v[8:9], v[2:3]
	v_mul_f64 v[8:9], v[160:161], s[24:25]
	v_mul_f64 v[6:7], v[130:131], v[22:23]
	v_fmac_f64_e32 v[170:171], v[130:131], v[20:21]
	v_add_f64 v[234:235], v[182:183], v[146:147]
	v_add_f64 v[134:135], v[182:183], -v[146:147]
	v_accvgpr_write_b32 a81, v9
	v_fma_f64 v[186:187], v[128:129], v[20:21], -v[6:7]
	v_add_f64 v[236:237], v[168:169], v[178:179]
	v_mul_f64 v[12:13], v[134:135], s[24:25]
	v_accvgpr_write_b32 a80, v8
	v_fma_f64 v[8:9], s[16:17], v[234:235], v[8:9]
	v_add_f64 v[190:191], v[170:171], -v[176:177]
	v_add_f64 v[0:1], v[8:9], v[0:1]
	v_fma_f64 v[8:9], v[236:237], s[16:17], -v[12:13]
	v_add_f64 v[238:239], v[186:187], v[144:145]
	v_add_f64 v[194:195], v[186:187], -v[144:145]
	v_mul_f64 v[202:203], v[190:191], s[28:29]
	v_add_f64 v[2:3], v[8:9], v[2:3]
	v_add_f64 v[242:243], v[170:171], v[176:177]
	v_mul_f64 v[204:205], v[194:195], s[28:29]
	v_fma_f64 v[8:9], s[18:19], v[238:239], v[202:203]
	v_add_f64 v[80:81], v[172:173], -v[174:175]
	v_add_f64 v[0:1], v[8:9], v[0:1]
	v_fma_f64 v[8:9], v[242:243], s[18:19], -v[204:205]
	v_add_f64 v[244:245], v[140:141], v[142:143]
	v_add_f64 v[198:199], v[140:141], -v[142:143]
	v_mul_f64 v[206:207], v[80:81], s[30:31]
	v_mul_f64 v[88:89], v[74:75], s[22:23]
	;; [unrolled: 1-line block ×3, first 2 shown]
	v_accvgpr_write_b32 a77, v11
	v_add_f64 v[2:3], v[8:9], v[2:3]
	v_add_f64 v[246:247], v[172:173], v[174:175]
	v_mul_f64 v[208:209], v[198:199], s[30:31]
	v_fma_f64 v[8:9], s[20:21], v[244:245], v[206:207]
	v_fma_f64 v[4:5], s[6:7], v[210:211], v[88:89]
	v_accvgpr_write_b32 a75, v7
	v_accvgpr_write_b32 a76, v10
	v_mul_f64 v[10:11], v[132:133], s[28:29]
	v_add_f64 v[112:113], v[8:9], v[0:1]
	v_fma_f64 v[0:1], v[246:247], s[20:21], -v[208:209]
	v_accvgpr_write_b32 a74, v6
	v_fma_f64 v[6:7], v[212:213], s[6:7], -v[6:7]
	v_add_f64 v[4:5], v[120:121], v[4:5]
	v_add_f64 v[114:115], v[0:1], v[2:3]
	v_mul_f64 v[216:217], v[78:79], s[28:29]
	v_fma_f64 v[0:1], s[18:19], v[220:221], v[10:11]
	v_mul_f64 v[214:215], v[160:161], s[34:35]
	v_add_f64 v[6:7], v[122:123], v[6:7]
	v_add_f64 v[0:1], v[0:1], v[4:5]
	v_fma_f64 v[2:3], v[222:223], s[18:19], -v[216:217]
	v_fma_f64 v[4:5], s[20:21], v[234:235], v[214:215]
	v_mul_f64 v[224:225], v[134:135], s[34:35]
	v_add_f64 v[2:3], v[2:3], v[6:7]
	v_add_f64 v[0:1], v[4:5], v[0:1]
	v_fma_f64 v[4:5], v[236:237], s[20:21], -v[224:225]
	v_mul_f64 v[218:219], v[190:191], s[36:37]
	v_add_f64 v[2:3], v[4:5], v[2:3]
	v_fma_f64 v[4:5], s[16:17], v[238:239], v[218:219]
	v_mul_f64 v[228:229], v[194:195], s[36:37]
	v_add_f64 v[0:1], v[4:5], v[0:1]
	v_fma_f64 v[4:5], v[242:243], s[16:17], -v[228:229]
	v_mul_f64 v[226:227], v[80:81], s[38:39]
	v_add_f64 v[2:3], v[4:5], v[2:3]
	v_fma_f64 v[4:5], s[0:1], v[244:245], v[226:227]
	v_mul_f64 v[230:231], v[198:199], s[38:39]
	;; [unrolled: 6-line block ×3, first 2 shown]
	v_add_f64 v[0:1], v[120:121], v[0:1]
	v_fma_f64 v[2:3], s[20:21], v[220:221], v[240:241]
	v_mul_f64 v[250:251], v[72:73], s[24:25]
	v_add_f64 v[0:1], v[2:3], v[0:1]
	v_fma_f64 v[2:3], v[212:213], s[16:17], -v[250:251]
	v_mul_f64 v[252:253], v[78:79], s[34:35]
	s_mov_b32 s23, 0x3fed1bb4
	v_add_f64 v[2:3], v[122:123], v[2:3]
	v_fma_f64 v[4:5], v[222:223], s[20:21], -v[252:253]
	v_mul_f64 v[248:249], v[160:161], s[22:23]
	v_add_f64 v[4:5], v[4:5], v[2:3]
	v_fma_f64 v[2:3], s[6:7], v[234:235], v[248:249]
	v_add_f64 v[0:1], v[2:3], v[0:1]
	v_mul_f64 v[2:3], v[134:135], s[22:23]
	v_fma_f64 v[6:7], v[236:237], s[6:7], -v[2:3]
	v_mul_f64 v[254:255], v[190:191], s[26:27]
	v_add_f64 v[6:7], v[6:7], v[4:5]
	v_fma_f64 v[4:5], s[0:1], v[238:239], v[254:255]
	v_add_f64 v[8:9], v[4:5], v[0:1]
	v_mul_f64 v[4:5], v[194:195], s[26:27]
	v_accvgpr_write_b32 a79, v11
	v_fma_f64 v[0:1], v[242:243], s[0:1], -v[4:5]
	v_accvgpr_write_b32 a78, v10
	v_add_f64 v[10:11], v[0:1], v[6:7]
	v_mul_f64 v[0:1], v[80:81], s[28:29]
	v_fma_f64 v[6:7], s[18:19], v[244:245], v[0:1]
	v_add_f64 v[124:125], v[6:7], v[8:9]
	v_mul_f64 v[6:7], v[198:199], s[28:29]
	v_fma_f64 v[8:9], v[246:247], s[18:19], -v[6:7]
	v_add_f64 v[126:127], v[8:9], v[10:11]
	v_mul_f64 v[8:9], v[74:75], s[28:29]
	v_accvgpr_write_b32 a83, v13
	v_fma_f64 v[10:11], s[18:19], v[210:211], v[8:9]
	v_accvgpr_write_b32 a82, v12
	v_add_f64 v[12:13], v[120:121], v[10:11]
	v_mul_f64 v[10:11], v[132:133], s[36:37]
	v_fma_f64 v[14:15], s[16:17], v[220:221], v[10:11]
	v_add_f64 v[16:17], v[14:15], v[12:13]
	v_mul_f64 v[14:15], v[72:73], s[28:29]
	v_accvgpr_write_b32 a45, v23
	v_fma_f64 v[12:13], v[212:213], s[18:19], -v[14:15]
	v_mul_f64 v[18:19], v[78:79], s[36:37]
	v_accvgpr_write_b32 a44, v22
	v_accvgpr_write_b32 a43, v21
	;; [unrolled: 1-line block ×3, first 2 shown]
	v_add_f64 v[12:13], v[122:123], v[12:13]
	v_fma_f64 v[20:21], v[222:223], s[16:17], -v[18:19]
	v_add_f64 v[20:21], v[20:21], v[12:13]
	v_mul_f64 v[12:13], v[160:161], s[26:27]
	v_fma_f64 v[22:23], s[0:1], v[234:235], v[12:13]
	v_add_f64 v[82:83], v[22:23], v[16:17]
	v_mul_f64 v[22:23], v[134:135], s[26:27]
	v_fma_f64 v[16:17], v[236:237], s[0:1], -v[22:23]
	v_add_f64 v[20:21], v[16:17], v[20:21]
	v_mul_f64 v[16:17], v[190:191], s[30:31]
	v_fma_f64 v[128:129], s[20:21], v[238:239], v[16:17]
	v_mul_f64 v[152:153], v[194:195], s[30:31]
	v_add_f64 v[82:83], v[128:129], v[82:83]
	v_fma_f64 v[128:129], v[242:243], s[20:21], -v[152:153]
	v_add_f64 v[130:131], v[128:129], v[20:21]
	v_mul_f64 v[20:21], v[80:81], s[22:23]
	v_fma_f64 v[128:129], s[6:7], v[244:245], v[20:21]
	v_mul_f64 v[154:155], v[198:199], s[22:23]
	v_mul_f64 v[162:163], v[74:75], s[30:31]
	;; [unrolled: 1-line block ×3, first 2 shown]
	v_add_f64 v[128:129], v[128:129], v[82:83]
	v_fma_f64 v[82:83], v[246:247], s[6:7], -v[154:155]
	v_fma_f64 v[74:75], s[20:21], v[210:211], v[162:163]
	v_mul_f64 v[188:189], v[132:133], s[38:39]
	v_fma_f64 v[72:73], v[212:213], s[20:21], -v[192:193]
	v_mul_f64 v[158:159], v[78:79], s[38:39]
	v_add_f64 v[130:131], v[82:83], v[130:131]
	v_add_f64 v[74:75], v[120:121], v[74:75]
	v_fma_f64 v[82:83], s[0:1], v[220:221], v[188:189]
	v_add_f64 v[72:73], v[122:123], v[72:73]
	v_fma_f64 v[78:79], v[222:223], s[0:1], -v[158:159]
	v_mul_f64 v[160:161], v[160:161], s[28:29]
	v_add_f64 v[74:75], v[82:83], v[74:75]
	v_add_f64 v[72:73], v[78:79], v[72:73]
	v_fma_f64 v[78:79], s[18:19], v[234:235], v[160:161]
	v_mul_f64 v[196:197], v[134:135], s[28:29]
	v_add_f64 v[74:75], v[78:79], v[74:75]
	v_fma_f64 v[78:79], v[236:237], s[18:19], -v[196:197]
	v_mul_f64 v[190:191], v[190:191], s[22:23]
	v_add_f64 v[78:79], v[78:79], v[72:73]
	v_fma_f64 v[72:73], s[6:7], v[238:239], v[190:191]
	v_add_f64 v[82:83], v[72:73], v[74:75]
	v_mul_f64 v[72:73], v[194:195], s[22:23]
	v_fma_f64 v[74:75], v[242:243], s[6:7], -v[72:73]
	v_mul_f64 v[194:195], v[80:81], s[24:25]
	v_add_f64 v[78:79], v[74:75], v[78:79]
	v_mul_f64 v[74:75], v[198:199], s[24:25]
	v_fma_f64 v[80:81], s[16:17], v[244:245], v[194:195]
	v_add_f64 v[132:133], v[80:81], v[82:83]
	v_fma_f64 v[80:81], v[246:247], s[16:17], -v[74:75]
	v_add_f64 v[134:135], v[80:81], v[78:79]
	s_and_saveexec_b64 s[22:23], s[2:3]
	s_cbranch_execz .LBB0_11
; %bb.10:
	v_mul_f64 v[78:79], v[210:211], s[0:1]
	v_accvgpr_write_b32 a85, v79
	v_accvgpr_write_b32 a84, v78
	v_mul_f64 v[78:79], v[212:213], s[0:1]
	v_accvgpr_write_b32 a91, v79
	v_accvgpr_write_b32 a90, v78
	;; [unrolled: 3-line block ×3, first 2 shown]
	v_mul_f64 v[78:79], v[212:213], s[6:7]
	v_mul_f64 v[80:81], v[220:221], s[6:7]
	v_accvgpr_write_b32 a107, v79
	v_accvgpr_write_b32 a93, v87
	;; [unrolled: 1-line block ×5, first 2 shown]
	v_mul_f64 v[78:79], v[210:211], s[16:17]
	v_accvgpr_write_b32 a87, v85
	v_accvgpr_write_b32 a92, v86
	v_mul_f64 v[86:87], v[210:211], s[18:19]
	v_accvgpr_write_b32 a103, v89
	v_accvgpr_write_b32 a39, v91
	v_accvgpr_write_b32 a40, v92
	v_accvgpr_write_b32 a41, v93
	v_mul_f64 v[90:91], v[210:211], s[20:21]
	v_mul_f64 v[210:211], v[212:213], s[20:21]
	v_accvgpr_write_b32 a88, v80
	v_mul_f64 v[80:81], v[222:223], s[6:7]
	v_accvgpr_write_b32 a0, v200
	;; [unrolled: 2-line block ×5, first 2 shown]
	v_mul_f64 v[212:213], v[220:221], s[18:19]
	v_mul_f64 v[92:93], v[220:221], s[20:21]
	v_accvgpr_write_b32 a34, v94
	v_accvgpr_write_b32 a1, v201
	v_mul_f64 v[200:201], v[220:221], s[16:17]
	v_accvgpr_write_b32 a2, v98
	v_mov_b32_e32 v77, v99
	v_mul_f64 v[98:99], v[220:221], s[0:1]
	v_mul_f64 v[220:221], v[222:223], s[0:1]
	v_accvgpr_write_b32 a95, v83
	v_accvgpr_write_b32 a62, v102
	;; [unrolled: 1-line block ×4, first 2 shown]
	v_add_f64 v[192:193], v[192:193], v[210:211]
	v_accvgpr_write_b32 a96, v80
	v_mul_f64 v[80:81], v[222:223], s[18:19]
	v_accvgpr_write_b32 a35, v95
	v_accvgpr_write_b32 a36, v96
	;; [unrolled: 1-line block ×3, first 2 shown]
	v_mul_f64 v[94:95], v[222:223], s[20:21]
	v_mul_f64 v[96:97], v[222:223], s[16:17]
	v_accvgpr_write_b32 a94, v82
	v_mul_f64 v[222:223], v[236:237], s[16:17]
	v_mul_f64 v[82:83], v[234:235], s[20:21]
	v_accvgpr_write_b32 a3, v100
	v_accvgpr_write_b32 a17, v101
	v_mul_f64 v[100:101], v[236:237], s[20:21]
	v_accvgpr_write_b32 a63, v103
	v_accvgpr_write_b32 a64, v104
	;; [unrolled: 1-line block ×3, first 2 shown]
	v_mul_f64 v[102:103], v[234:235], s[6:7]
	v_mul_f64 v[104:105], v[236:237], s[6:7]
	v_accvgpr_write_b32 a31, v107
	v_accvgpr_write_b32 a32, v108
	;; [unrolled: 1-line block ×3, first 2 shown]
	v_mul_f64 v[106:107], v[234:235], s[0:1]
	v_mul_f64 v[108:109], v[236:237], s[0:1]
	v_accvgpr_write_b32 a101, v111
	v_mul_f64 v[110:111], v[234:235], s[18:19]
	v_mul_f64 v[234:235], v[236:237], s[18:19]
	;; [unrolled: 1-line block ×3, first 2 shown]
	v_add_f64 v[158:159], v[158:159], v[220:221]
	v_add_f64 v[192:193], v[122:123], v[192:193]
	v_add_f64 v[8:9], v[86:87], -v[8:9]
	v_accvgpr_write_b32 a70, v112
	v_add_f64 v[74:75], v[74:75], v[236:237]
	v_mul_f64 v[236:237], v[242:243], s[6:7]
	v_add_f64 v[196:197], v[196:197], v[234:235]
	v_add_f64 v[158:159], v[158:159], v[192:193]
	v_add_f64 v[10:11], v[200:201], -v[10:11]
	v_add_f64 v[8:9], v[120:121], v[8:9]
	v_mul_f64 v[198:199], v[238:239], s[18:19]
	v_accvgpr_write_b32 a71, v113
	v_accvgpr_write_b32 a72, v114
	v_accvgpr_write_b32 a73, v115
	v_mul_f64 v[112:113], v[238:239], s[16:17]
	v_add_f64 v[72:73], v[72:73], v[236:237]
	v_mul_f64 v[236:237], v[238:239], s[0:1]
	v_mul_f64 v[220:221], v[238:239], s[20:21]
	;; [unrolled: 1-line block ×3, first 2 shown]
	v_add_f64 v[158:159], v[196:197], v[158:159]
	v_add_f64 v[14:15], v[14:15], v[88:89]
	v_add_f64 v[12:13], v[106:107], -v[12:13]
	v_add_f64 v[8:9], v[10:11], v[8:9]
	v_mul_f64 v[210:211], v[244:245], s[20:21]
	v_mul_f64 v[196:197], v[244:245], s[0:1]
	v_add_f64 v[72:73], v[72:73], v[158:159]
	v_mul_f64 v[158:159], v[244:245], s[16:17]
	v_add_f64 v[190:191], v[238:239], -v[190:191]
	v_mul_f64 v[238:239], v[244:245], s[18:19]
	v_mul_f64 v[244:245], v[244:245], s[6:7]
	v_add_f64 v[18:19], v[18:19], v[96:97]
	v_add_f64 v[14:15], v[122:123], v[14:15]
	v_add_f64 v[16:17], v[220:221], -v[16:17]
	v_add_f64 v[8:9], v[12:13], v[8:9]
	v_add_f64 v[14:15], v[18:19], v[14:15]
	v_add_f64 v[18:19], v[244:245], -v[20:21]
	v_add_f64 v[8:9], v[16:17], v[8:9]
	v_add_f64 v[10:11], v[250:251], v[84:85]
	v_add_f64 v[12:13], v[18:19], v[8:9]
	v_add_f64 v[8:9], v[252:253], v[94:95]
	v_add_f64 v[10:11], v[122:123], v[10:11]
	v_accvgpr_read_b32 v16, a74
	v_accvgpr_read_b32 v18, a106
	v_add_f64 v[2:3], v[2:3], v[104:105]
	v_add_f64 v[8:9], v[8:9], v[10:11]
	v_add_f64 v[10:11], v[78:79], -v[232:233]
	v_accvgpr_read_b32 v17, a75
	v_accvgpr_read_b32 v19, a107
	v_add_f64 v[2:3], v[2:3], v[8:9]
	v_add_f64 v[8:9], v[92:93], -v[240:241]
	v_add_f64 v[10:11], v[120:121], v[10:11]
	v_add_f64 v[16:17], v[16:17], v[18:19]
	;; [unrolled: 1-line block ×5, first 2 shown]
	v_accvgpr_read_b32 v18, a98
	v_accvgpr_read_b32 v20, a102
	v_add_f64 v[10:11], v[10:11], v[16:17]
	v_accvgpr_read_b32 v16, a78
	v_accvgpr_read_b32 v19, a99
	;; [unrolled: 1-line block ×3, first 2 shown]
	v_mul_f64 v[234:235], v[242:243], s[0:1]
	v_accvgpr_read_b32 v17, a79
	v_add_f64 v[18:19], v[18:19], -v[20:21]
	v_add_f64 v[110:111], v[110:111], -v[160:161]
	v_mul_f64 v[160:161], v[246:247], s[18:19]
	v_add_f64 v[4:5], v[4:5], v[234:235]
	v_add_f64 v[16:17], v[212:213], -v[16:17]
	v_add_f64 v[18:19], v[120:121], v[18:19]
	v_add_f64 v[6:7], v[6:7], v[160:161]
	;; [unrolled: 1-line block ×4, first 2 shown]
	v_accvgpr_read_b32 v18, a76
	v_accvgpr_read_b32 v20, a96
	v_add_f64 v[22:23], v[22:23], v[108:109]
	v_add_f64 v[2:3], v[6:7], v[2:3]
	v_add_f64 v[6:7], v[102:103], -v[248:249]
	v_accvgpr_read_b32 v19, a77
	v_accvgpr_read_b32 v21, a97
	v_add_f64 v[14:15], v[22:23], v[14:15]
	v_add_f64 v[6:7], v[6:7], v[8:9]
	;; [unrolled: 1-line block ×4, first 2 shown]
	v_accvgpr_read_b32 v20, a90
	v_accvgpr_read_b32 v22, a92
	v_add_f64 v[8:9], v[8:9], v[10:11]
	v_add_f64 v[10:11], v[82:83], -v[214:215]
	v_accvgpr_read_b32 v21, a91
	v_accvgpr_read_b32 v23, a93
	v_add_f64 v[10:11], v[10:11], v[16:17]
	v_accvgpr_read_b32 v16, a82
	v_add_f64 v[20:21], v[22:23], v[20:21]
	v_accvgpr_read_b32 v17, a83
	v_add_f64 v[20:21], v[122:123], v[20:21]
	v_add_f64 v[16:17], v[16:17], v[222:223]
	v_add_f64 v[18:19], v[18:19], v[20:21]
	;; [unrolled: 1-line block ×3, first 2 shown]
	v_accvgpr_read_b32 v18, a80
	v_accvgpr_read_b32 v20, a94
	;; [unrolled: 1-line block ×4, first 2 shown]
	v_add_f64 v[18:19], v[20:21], -v[18:19]
	v_accvgpr_read_b32 v20, a88
	v_accvgpr_read_b32 v22, a100
	v_mul_f64 v[114:115], v[242:243], s[16:17]
	v_add_f64 v[4:5], v[236:237], -v[254:255]
	v_accvgpr_read_b32 v21, a89
	v_accvgpr_read_b32 v23, a101
	v_accvgpr_write_b32 a104, v198
	v_add_f64 v[4:5], v[4:5], v[6:7]
	v_add_f64 v[6:7], v[228:229], v[114:115]
	v_add_f64 v[20:21], v[20:21], -v[22:23]
	v_accvgpr_read_b32 v22, a84
	v_accvgpr_read_b32 v78, a86
	v_accvgpr_write_b32 a105, v199
	v_mul_f64 v[198:199], v[242:243], s[18:19]
	v_add_f64 v[6:7], v[6:7], v[8:9]
	v_add_f64 v[8:9], v[112:113], -v[218:219]
	v_accvgpr_read_b32 v23, a85
	v_accvgpr_read_b32 v79, a87
	v_add_f64 v[158:159], v[158:159], -v[194:195]
	v_mul_f64 v[194:195], v[246:247], s[0:1]
	v_add_f64 v[0:1], v[238:239], -v[0:1]
	v_add_f64 v[8:9], v[8:9], v[10:11]
	v_add_f64 v[10:11], v[204:205], v[198:199]
	v_add_f64 v[22:23], v[22:23], -v[78:79]
	v_add_f64 v[0:1], v[0:1], v[4:5]
	v_add_f64 v[4:5], v[230:231], v[194:195]
	;; [unrolled: 1-line block ×3, first 2 shown]
	v_accvgpr_read_b32 v16, a104
	v_add_f64 v[22:23], v[120:121], v[22:23]
	v_mul_f64 v[192:193], v[246:247], s[20:21]
	v_add_f64 v[6:7], v[4:5], v[6:7]
	v_add_f64 v[4:5], v[196:197], -v[226:227]
	v_accvgpr_read_b32 v17, a105
	v_add_f64 v[20:21], v[20:21], v[22:23]
	v_add_f64 v[4:5], v[4:5], v[8:9]
	;; [unrolled: 1-line block ×3, first 2 shown]
	v_add_f64 v[16:17], v[16:17], -v[202:203]
	v_add_f64 v[18:19], v[18:19], v[20:21]
	v_add_f64 v[10:11], v[8:9], v[10:11]
	v_add_f64 v[8:9], v[210:211], -v[206:207]
	v_add_f64 v[16:17], v[16:17], v[18:19]
	v_add_f64 v[8:9], v[8:9], v[16:17]
	;; [unrolled: 1-line block ×17, first 2 shown]
	v_mul_f64 v[242:243], v[242:243], s[20:21]
	v_add_f64 v[90:91], v[90:91], -v[162:163]
	v_add_f64 v[16:17], v[16:17], v[142:143]
	v_mul_f64 v[246:247], v[246:247], s[6:7]
	v_add_f64 v[74:75], v[74:75], v[72:73]
	v_add_f64 v[72:73], v[98:99], -v[188:189]
	v_add_f64 v[90:91], v[120:121], v[90:91]
	v_add_f64 v[98:99], v[152:153], v[242:243]
	;; [unrolled: 1-line block ×9, first 2 shown]
	v_accvgpr_read_b32 v109, a33
	v_accvgpr_read_b32 v201, a1
	v_accvgpr_read_b32 v97, a37
	v_accvgpr_read_b32 v105, a65
	v_accvgpr_read_b32 v93, a41
	v_accvgpr_read_b32 v115, a73
	v_add_f64 v[16:17], v[16:17], v[148:149]
	v_add_f64 v[72:73], v[190:191], v[72:73]
	v_mov_b32_e32 v99, v77
	v_accvgpr_read_b32 v98, a2
	v_accvgpr_read_b32 v108, a32
	;; [unrolled: 1-line block ×19, first 2 shown]
	v_add_f64 v[16:17], v[16:17], v[150:151]
	v_add_f64 v[72:73], v[158:159], v[72:73]
	ds_write_b128 v156, v[16:19]
	ds_write_b128 v156, v[8:11] offset:2352
	ds_write_b128 v156, v[4:7] offset:4704
	;; [unrolled: 1-line block ×10, first 2 shown]
.LBB0_11:
	s_or_b64 exec, exec, s[22:23]
	v_lshlrev_b32_e32 v0, 4, v98
	v_mov_b32_e32 v1, 0
	v_lshl_add_u64 v[20:21], s[14:15], 0, v[0:1]
	s_movk_i32 s6, 0x6000
	s_mov_b64 s[0:1], 0x6510
	v_add_co_u32_e32 v8, vcc, s6, v20
	v_lshl_add_u64 v[120:121], v[20:21], 0, s[0:1]
	s_nop 0
	v_addc_co_u32_e32 v9, vcc, 0, v21, vcc
	s_mov_b32 s0, 0x8000
	v_add_co_u32_e32 v0, vcc, s0, v20
	s_mov_b32 s0, 0xa000
	s_nop 0
	v_addc_co_u32_e32 v1, vcc, 0, v21, vcc
	v_add_co_u32_e32 v4, vcc, s0, v20
	s_mov_b32 s0, 0x9000
	s_nop 0
	v_addc_co_u32_e32 v5, vcc, 0, v21, vcc
	;; [unrolled: 4-line block ×3, first 2 shown]
	v_add_co_u32_e32 v20, vcc, s0, v20
	s_waitcnt lgkmcnt(0)
	s_nop 0
	v_addc_co_u32_e32 v21, vcc, 0, v21, vcc
	s_barrier
	global_load_dwordx4 v[0:3], v[0:1], off offset:1728
	s_nop 0
	global_load_dwordx4 v[4:7], v[4:5], off offset:2160
	s_nop 0
	;; [unrolled: 2-line block ×5, first 2 shown]
	global_load_dwordx4 v[20:23], v[20:21], off offset:1760
	ds_read_b128 v[72:75], v156
	ds_read_b128 v[136:139], v156 offset:3696
	ds_read_b128 v[140:143], v156 offset:8624
	;; [unrolled: 1-line block ×5, first 2 shown]
	s_waitcnt vmcnt(5) lgkmcnt(3)
	v_mul_f64 v[80:81], v[142:143], v[2:3]
	s_waitcnt vmcnt(4) lgkmcnt(1)
	v_mul_f64 v[82:83], v[150:151], v[6:7]
	s_waitcnt vmcnt(3)
	v_mul_f64 v[78:79], v[74:75], v[10:11]
	v_mul_f64 v[160:161], v[72:73], v[10:11]
	;; [unrolled: 1-line block ×4, first 2 shown]
	s_waitcnt vmcnt(2)
	v_mul_f64 v[84:85], v[138:139], v[14:15]
	v_mul_f64 v[6:7], v[136:137], v[14:15]
	s_waitcnt vmcnt(1)
	v_mul_f64 v[86:87], v[146:147], v[18:19]
	v_mul_f64 v[14:15], v[144:145], v[18:19]
	s_waitcnt vmcnt(0) lgkmcnt(0)
	v_mul_f64 v[88:89], v[154:155], v[22:23]
	v_mul_f64 v[18:19], v[152:153], v[22:23]
	v_fma_f64 v[158:159], v[72:73], v[8:9], -v[78:79]
	v_fmac_f64_e32 v[160:161], v[74:75], v[8:9]
	v_fma_f64 v[8:9], v[140:141], v[0:1], -v[80:81]
	v_fmac_f64_e32 v[10:11], v[142:143], v[0:1]
	;; [unrolled: 2-line block ×6, first 2 shown]
	ds_write_b128 v156, v[158:161]
	ds_write_b128 v156, v[8:11] offset:8624
	ds_write_b128 v156, v[0:3] offset:17248
	;; [unrolled: 1-line block ×5, first 2 shown]
	s_and_saveexec_b64 s[0:1], s[4:5]
	s_cbranch_execz .LBB0_13
; %bb.12:
	v_add_co_u32_e32 v0, vcc, 0x1000, v120
	s_movk_i32 s7, 0x3000
	s_nop 0
	v_addc_co_u32_e32 v1, vcc, 0, v121, vcc
	v_add_co_u32_e32 v4, vcc, s6, v120
	global_load_dwordx4 v[0:3], v[0:1], off offset:3296
	s_nop 0
	v_addc_co_u32_e32 v5, vcc, 0, v121, vcc
	global_load_dwordx4 v[4:7], v[4:5], off offset:64
	v_add_co_u32_e32 v8, vcc, s7, v120
	s_nop 1
	v_addc_co_u32_e32 v9, vcc, 0, v121, vcc
	global_load_dwordx4 v[8:11], v[8:9], off offset:3728
	ds_read_b128 v[12:15], v156 offset:24640
	ds_read_b128 v[16:19], v156 offset:7392
	ds_read_b128 v[20:23], v156 offset:16016
	s_waitcnt vmcnt(2) lgkmcnt(1)
	v_mul_f64 v[78:79], v[18:19], v[2:3]
	s_waitcnt vmcnt(1)
	v_mul_f64 v[72:73], v[14:15], v[6:7]
	v_mul_f64 v[74:75], v[12:13], v[6:7]
	;; [unrolled: 1-line block ×3, first 2 shown]
	v_fma_f64 v[72:73], v[12:13], v[4:5], -v[72:73]
	v_fmac_f64_e32 v[74:75], v[14:15], v[4:5]
	v_fma_f64 v[4:5], v[16:17], v[0:1], -v[78:79]
	s_waitcnt vmcnt(0) lgkmcnt(0)
	v_mul_f64 v[80:81], v[22:23], v[10:11]
	v_mul_f64 v[2:3], v[20:21], v[10:11]
	v_fmac_f64_e32 v[6:7], v[18:19], v[0:1]
	v_fma_f64 v[0:1], v[20:21], v[8:9], -v[80:81]
	v_fmac_f64_e32 v[2:3], v[22:23], v[8:9]
	ds_write_b128 v156, v[4:7] offset:7392
	ds_write_b128 v156, v[0:3] offset:16016
	;; [unrolled: 1-line block ×3, first 2 shown]
.LBB0_13:
	s_or_b64 exec, exec, s[0:1]
	s_waitcnt lgkmcnt(0)
	s_barrier
	ds_read_b128 v[144:147], v156
	ds_read_b128 v[140:143], v156 offset:3696
	ds_read_b128 v[148:151], v156 offset:8624
	;; [unrolled: 1-line block ×5, first 2 shown]
	s_and_saveexec_b64 s[0:1], s[4:5]
	s_cbranch_execz .LBB0_15
; %bb.14:
	ds_read_b128 v[132:135], v156 offset:7392
	ds_read_b128 v[128:131], v156 offset:16016
	;; [unrolled: 1-line block ×3, first 2 shown]
.LBB0_15:
	s_or_b64 exec, exec, s[0:1]
	s_waitcnt lgkmcnt(1)
	v_add_f64 v[2:3], v[148:149], v[152:153]
	s_mov_b32 s0, 0xe8584caa
	v_add_f64 v[0:1], v[144:145], v[148:149]
	v_fmac_f64_e32 v[144:145], -0.5, v[2:3]
	v_add_f64 v[2:3], v[150:151], -v[154:155]
	s_mov_b32 s1, 0xbfebb67a
	s_mov_b32 s7, 0x3febb67a
	;; [unrolled: 1-line block ×3, first 2 shown]
	v_add_f64 v[6:7], v[150:151], v[154:155]
	v_fma_f64 v[4:5], s[0:1], v[2:3], v[144:145]
	v_fmac_f64_e32 v[144:145], s[6:7], v[2:3]
	v_add_f64 v[2:3], v[146:147], v[150:151]
	v_fmac_f64_e32 v[146:147], -0.5, v[6:7]
	v_add_f64 v[8:9], v[148:149], -v[152:153]
	s_waitcnt lgkmcnt(0)
	v_add_f64 v[10:11], v[120:121], v[136:137]
	v_fma_f64 v[6:7], s[6:7], v[8:9], v[146:147]
	v_fmac_f64_e32 v[146:147], s[0:1], v[8:9]
	v_add_f64 v[8:9], v[140:141], v[120:121]
	v_fmac_f64_e32 v[140:141], -0.5, v[10:11]
	v_add_f64 v[10:11], v[122:123], -v[138:139]
	v_add_f64 v[14:15], v[122:123], v[138:139]
	v_fma_f64 v[12:13], s[0:1], v[10:11], v[140:141]
	v_fmac_f64_e32 v[140:141], s[6:7], v[10:11]
	v_add_f64 v[10:11], v[142:143], v[122:123]
	v_fmac_f64_e32 v[142:143], -0.5, v[14:15]
	v_add_f64 v[16:17], v[120:121], -v[136:137]
	v_fma_f64 v[14:15], s[6:7], v[16:17], v[142:143]
	v_fmac_f64_e32 v[142:143], s[0:1], v[16:17]
	v_add_f64 v[16:17], v[128:129], v[124:125]
	v_fma_f64 v[120:121], -0.5, v[16:17], v[132:133]
	v_add_f64 v[16:17], v[130:131], -v[126:127]
	v_add_f64 v[8:9], v[8:9], v[136:137]
	v_fma_f64 v[136:137], s[0:1], v[16:17], v[120:121]
	v_fmac_f64_e32 v[120:121], s[6:7], v[16:17]
	v_add_f64 v[16:17], v[130:131], v[126:127]
	v_fma_f64 v[122:123], -0.5, v[16:17], v[134:135]
	v_add_f64 v[16:17], v[128:129], -v[124:125]
	v_add_f64 v[0:1], v[0:1], v[152:153]
	v_add_f64 v[2:3], v[2:3], v[154:155]
	;; [unrolled: 1-line block ×3, first 2 shown]
	v_fma_f64 v[138:139], s[6:7], v[16:17], v[122:123]
	v_fmac_f64_e32 v[122:123], s[0:1], v[16:17]
	s_barrier
	ds_write_b128 v99, v[0:3]
	ds_write_b128 v99, v[4:7] offset:16
	ds_write_b128 v99, v[144:147] offset:32
	ds_write_b128 v100, v[8:11]
	ds_write_b128 v100, v[12:15] offset:16
	ds_write_b128 v100, v[140:143] offset:32
	s_and_saveexec_b64 s[0:1], s[4:5]
	s_cbranch_execz .LBB0_17
; %bb.16:
	v_add_f64 v[0:1], v[134:135], v[130:131]
	v_add_f64 v[2:3], v[0:1], v[126:127]
	;; [unrolled: 1-line block ×4, first 2 shown]
	v_lshlrev_b32_e32 v4, 4, v101
	ds_write_b128 v4, v[0:3]
	ds_write_b128 v4, v[136:139] offset:16
	ds_write_b128 v4, v[120:123] offset:32
.LBB0_17:
	s_or_b64 exec, exec, s[0:1]
	s_waitcnt lgkmcnt(0)
	s_barrier
	ds_read_b128 v[0:3], v156
	ds_read_b128 v[4:7], v156 offset:3696
	ds_read_b128 v[8:11], v156 offset:7392
	;; [unrolled: 1-line block ×6, first 2 shown]
	s_waitcnt lgkmcnt(5)
	v_mul_f64 v[78:79], v[38:39], v[6:7]
	v_fmac_f64_e32 v[78:79], v[36:37], v[4:5]
	v_mul_f64 v[4:5], v[38:39], v[4:5]
	v_fma_f64 v[4:5], v[36:37], v[6:7], -v[4:5]
	s_waitcnt lgkmcnt(4)
	v_mul_f64 v[6:7], v[34:35], v[10:11]
	v_fmac_f64_e32 v[6:7], v[32:33], v[8:9]
	v_mul_f64 v[8:9], v[34:35], v[8:9]
	v_fma_f64 v[8:9], v[32:33], v[10:11], -v[8:9]
	;; [unrolled: 5-line block ×5, first 2 shown]
	s_waitcnt lgkmcnt(0)
	v_mul_f64 v[22:23], v[42:43], v[74:75]
	v_mul_f64 v[24:25], v[42:43], v[72:73]
	v_fmac_f64_e32 v[22:23], v[40:41], v[72:73]
	v_fma_f64 v[24:25], v[40:41], v[74:75], -v[24:25]
	v_add_f64 v[26:27], v[78:79], v[22:23]
	v_add_f64 v[28:29], v[4:5], v[24:25]
	v_add_f64 v[4:5], v[4:5], -v[24:25]
	v_add_f64 v[24:25], v[6:7], v[18:19]
	v_add_f64 v[30:31], v[8:9], v[20:21]
	v_add_f64 v[6:7], v[6:7], -v[18:19]
	v_add_f64 v[18:19], v[10:11], v[14:15]
	v_add_f64 v[10:11], v[14:15], -v[10:11]
	;; [unrolled: 2-line block ×4, first 2 shown]
	v_add_f64 v[16:17], v[30:31], v[28:29]
	v_add_f64 v[14:15], v[18:19], v[14:15]
	v_add_f64 v[22:23], v[78:79], -v[22:23]
	v_add_f64 v[16:17], v[20:21], v[16:17]
	v_add_f64 v[0:1], v[0:1], v[14:15]
	s_mov_b32 s6, 0x37e14327
	s_mov_b32 s0, 0x36b3c0b5
	;; [unrolled: 1-line block ×5, first 2 shown]
	v_add_f64 v[32:33], v[24:25], -v[26:27]
	v_add_f64 v[34:35], v[30:31], -v[28:29]
	;; [unrolled: 1-line block ×6, first 2 shown]
	v_add_f64 v[36:37], v[10:11], v[6:7]
	v_add_f64 v[38:39], v[12:13], v[8:9]
	v_add_f64 v[40:41], v[10:11], -v[6:7]
	v_add_f64 v[42:43], v[12:13], -v[8:9]
	;; [unrolled: 1-line block ×4, first 2 shown]
	v_add_f64 v[2:3], v[2:3], v[16:17]
	s_mov_b32 s7, 0x3fe948f6
	s_mov_b32 s1, 0x3fac98ee
	;; [unrolled: 1-line block ×5, first 2 shown]
	v_mov_b64_e32 v[44:45], v[0:1]
	s_mov_b32 s20, 0x5476071b
	s_mov_b32 s24, 0xb247c609
	v_add_f64 v[10:11], v[22:23], -v[10:11]
	v_add_f64 v[12:13], v[4:5], -v[12:13]
	v_add_f64 v[18:19], v[36:37], v[22:23]
	v_add_f64 v[4:5], v[38:39], v[4:5]
	v_mul_f64 v[20:21], v[26:27], s[6:7]
	v_mul_f64 v[22:23], v[28:29], s[6:7]
	;; [unrolled: 1-line block ×8, first 2 shown]
	v_fmac_f64_e32 v[44:45], s[18:19], v[14:15]
	v_mov_b64_e32 v[14:15], v[2:3]
	s_mov_b32 s21, 0x3fe77f67
	s_mov_b32 s23, 0xbfe77f67
	s_mov_b32 s22, s20
	s_mov_b32 s25, 0xbfd5d0dc
	s_mov_b32 s29, 0x3fd5d0dc
	s_mov_b32 s28, s24
	s_mov_b32 s26, 0x37c3f68c
	v_fmac_f64_e32 v[14:15], s[18:19], v[16:17]
	v_fma_f64 v[16:17], v[32:33], s[20:21], -v[26:27]
	v_fma_f64 v[26:27], v[34:35], s[20:21], -v[28:29]
	;; [unrolled: 1-line block ×3, first 2 shown]
	v_fmac_f64_e32 v[20:21], s[0:1], v[24:25]
	v_fma_f64 v[24:25], v[34:35], s[22:23], -v[22:23]
	v_fmac_f64_e32 v[22:23], s[0:1], v[30:31]
	v_fma_f64 v[30:31], v[6:7], s[14:15], -v[36:37]
	;; [unrolled: 2-line block ×4, first 2 shown]
	v_fma_f64 v[40:41], v[12:13], s[28:29], -v[42:43]
	s_mov_b32 s27, 0xbfdc38aa
	v_add_f64 v[42:43], v[20:21], v[44:45]
	v_add_f64 v[46:47], v[22:23], v[14:15]
	;; [unrolled: 1-line block ×6, first 2 shown]
	v_fmac_f64_e32 v[36:37], s[26:27], v[18:19]
	v_fmac_f64_e32 v[38:39], s[26:27], v[4:5]
	;; [unrolled: 1-line block ×6, first 2 shown]
	v_add_f64 v[4:5], v[38:39], v[42:43]
	v_add_f64 v[6:7], v[46:47], -v[36:37]
	v_add_f64 v[8:9], v[40:41], v[22:23]
	v_add_f64 v[10:11], v[24:25], -v[34:35]
	v_add_f64 v[12:13], v[16:17], -v[32:33]
	v_add_f64 v[14:15], v[30:31], v[20:21]
	v_add_f64 v[16:17], v[32:33], v[16:17]
	v_add_f64 v[18:19], v[20:21], -v[30:31]
	v_add_f64 v[20:21], v[22:23], -v[40:41]
	v_add_f64 v[22:23], v[34:35], v[24:25]
	v_add_f64 v[24:25], v[42:43], -v[38:39]
	v_add_f64 v[26:27], v[36:37], v[46:47]
	s_barrier
	ds_write_b128 v157, v[0:3]
	ds_write_b128 v157, v[4:7] offset:48
	ds_write_b128 v157, v[8:11] offset:96
	;; [unrolled: 1-line block ×6, first 2 shown]
	s_waitcnt lgkmcnt(0)
	s_barrier
	ds_read_b128 v[0:3], v156
	ds_read_b128 v[4:7], v156 offset:3696
	ds_read_b128 v[8:11], v156 offset:7392
	;; [unrolled: 1-line block ×6, first 2 shown]
	s_waitcnt lgkmcnt(5)
	v_mul_f64 v[28:29], v[62:63], v[6:7]
	v_fmac_f64_e32 v[28:29], v[60:61], v[4:5]
	v_mul_f64 v[4:5], v[62:63], v[4:5]
	v_fma_f64 v[4:5], v[60:61], v[6:7], -v[4:5]
	s_waitcnt lgkmcnt(4)
	v_mul_f64 v[6:7], v[58:59], v[10:11]
	v_fmac_f64_e32 v[6:7], v[56:57], v[8:9]
	v_mul_f64 v[8:9], v[58:59], v[8:9]
	v_fma_f64 v[8:9], v[56:57], v[10:11], -v[8:9]
	;; [unrolled: 5-line block ×6, first 2 shown]
	v_add_f64 v[26:27], v[28:29], v[22:23]
	v_add_f64 v[30:31], v[4:5], v[24:25]
	v_add_f64 v[22:23], v[28:29], -v[22:23]
	v_add_f64 v[4:5], v[4:5], -v[24:25]
	v_add_f64 v[24:25], v[6:7], v[18:19]
	v_add_f64 v[28:29], v[8:9], v[20:21]
	v_add_f64 v[6:7], v[6:7], -v[18:19]
	v_add_f64 v[8:9], v[8:9], -v[20:21]
	;; [unrolled: 4-line block ×4, first 2 shown]
	v_add_f64 v[36:37], v[26:27], -v[18:19]
	v_add_f64 v[30:31], v[30:31], -v[20:21]
	;; [unrolled: 1-line block ×4, first 2 shown]
	v_add_f64 v[24:25], v[10:11], v[6:7]
	v_add_f64 v[26:27], v[12:13], v[8:9]
	v_add_f64 v[40:41], v[10:11], -v[6:7]
	v_add_f64 v[42:43], v[12:13], -v[8:9]
	;; [unrolled: 1-line block ×4, first 2 shown]
	v_add_f64 v[14:15], v[18:19], v[14:15]
	v_add_f64 v[16:17], v[20:21], v[16:17]
	v_add_f64 v[10:11], v[22:23], -v[10:11]
	v_add_f64 v[12:13], v[4:5], -v[12:13]
	v_add_f64 v[18:19], v[24:25], v[22:23]
	v_add_f64 v[4:5], v[26:27], v[4:5]
	;; [unrolled: 1-line block ×4, first 2 shown]
	v_mul_f64 v[0:1], v[36:37], s[6:7]
	v_mul_f64 v[2:3], v[30:31], s[6:7]
	;; [unrolled: 1-line block ×8, first 2 shown]
	v_fma_f64 v[14:15], s[18:19], v[14:15], v[24:25]
	v_fma_f64 v[16:17], s[18:19], v[16:17], v[26:27]
	;; [unrolled: 1-line block ×3, first 2 shown]
	v_fma_f64 v[20:21], v[32:33], s[20:21], -v[20:21]
	v_fma_f64 v[22:23], v[34:35], s[20:21], -v[22:23]
	;; [unrolled: 1-line block ×4, first 2 shown]
	v_fmac_f64_e32 v[2:3], s[0:1], v[28:29]
	v_fma_f64 v[50:51], s[24:25], v[10:11], v[30:31]
	v_fma_f64 v[6:7], v[6:7], s[14:15], -v[30:31]
	v_fma_f64 v[8:9], v[8:9], s[14:15], -v[48:49]
	v_fmac_f64_e32 v[48:49], s[24:25], v[12:13]
	v_fma_f64 v[10:11], v[10:11], s[28:29], -v[36:37]
	v_fma_f64 v[12:13], v[12:13], s[28:29], -v[40:41]
	v_add_f64 v[52:53], v[38:39], v[14:15]
	v_add_f64 v[2:3], v[2:3], v[16:17]
	;; [unrolled: 1-line block ×6, first 2 shown]
	v_fmac_f64_e32 v[50:51], s[26:27], v[18:19]
	v_fmac_f64_e32 v[48:49], s[26:27], v[4:5]
	;; [unrolled: 1-line block ×6, first 2 shown]
	v_add_f64 v[28:29], v[48:49], v[52:53]
	v_add_f64 v[30:31], v[2:3], -v[50:51]
	v_add_f64 v[32:33], v[12:13], v[0:1]
	v_add_f64 v[34:35], v[14:15], -v[10:11]
	v_add_f64 v[36:37], v[20:21], -v[8:9]
	v_add_f64 v[38:39], v[6:7], v[22:23]
	v_add_f64 v[40:41], v[8:9], v[20:21]
	v_add_f64 v[42:43], v[22:23], -v[6:7]
	v_add_f64 v[44:45], v[0:1], -v[12:13]
	v_add_f64 v[46:47], v[10:11], v[14:15]
	v_add_f64 v[48:49], v[52:53], -v[48:49]
	v_add_f64 v[50:51], v[50:51], v[2:3]
	s_barrier
	ds_write_b128 v76, v[24:27]
	ds_write_b128 v76, v[28:31] offset:336
	ds_write_b128 v76, v[32:35] offset:672
	;; [unrolled: 1-line block ×6, first 2 shown]
	s_waitcnt lgkmcnt(0)
	s_barrier
	s_and_saveexec_b64 s[0:1], s[2:3]
	s_cbranch_execz .LBB0_19
; %bb.18:
	ds_read_b128 v[24:27], v156
	ds_read_b128 v[28:31], v156 offset:2352
	ds_read_b128 v[32:35], v156 offset:4704
	;; [unrolled: 1-line block ×10, first 2 shown]
.LBB0_19:
	s_or_b64 exec, exec, s[0:1]
	s_and_saveexec_b64 s[0:1], s[2:3]
	s_cbranch_execz .LBB0_21
; %bb.20:
	v_accvgpr_read_b32 v4, a66
	v_accvgpr_read_b32 v8, a42
	;; [unrolled: 1-line block ×8, first 2 shown]
	s_waitcnt lgkmcnt(5)
	v_mul_f64 v[52:53], v[6:7], v[46:47]
	v_mul_f64 v[2:3], v[6:7], v[44:45]
	v_accvgpr_read_b32 v9, a43
	v_accvgpr_read_b32 v14, a60
	;; [unrolled: 1-line block ×3, first 2 shown]
	v_mul_f64 v[6:7], v[10:11], v[40:41]
	v_fma_f64 v[56:57], v[4:5], v[46:47], -v[2:3]
	v_accvgpr_read_b32 v13, a59
	s_waitcnt lgkmcnt(3)
	v_mul_f64 v[46:47], v[14:15], v[138:139]
	v_fma_f64 v[62:63], v[8:9], v[42:43], -v[6:7]
	v_mul_f64 v[6:7], v[14:15], v[136:137]
	v_fmac_f64_e32 v[46:47], v[12:13], v[136:137]
	v_fma_f64 v[58:59], v[12:13], v[138:139], -v[6:7]
	v_accvgpr_read_b32 v12, a50
	v_fmac_f64_e32 v[52:53], v[4:5], v[44:45]
	v_mul_f64 v[54:55], v[104:105], v[50:51]
	v_mul_f64 v[2:3], v[104:105], v[48:49]
	v_mul_f64 v[44:45], v[10:11], v[42:43]
	v_accvgpr_read_b32 v14, a52
	v_accvgpr_read_b32 v15, a53
	v_mul_f64 v[10:11], v[92:93], v[36:37]
	v_accvgpr_read_b32 v16, a54
	v_accvgpr_read_b32 v20, a46
	v_fmac_f64_e32 v[54:55], v[102:103], v[48:49]
	v_fma_f64 v[48:49], v[102:103], v[50:51], -v[2:3]
	s_waitcnt lgkmcnt(2)
	v_mul_f64 v[50:51], v[14:15], v[122:123]
	v_fma_f64 v[80:81], v[90:91], v[38:39], -v[10:11]
	v_mul_f64 v[10:11], v[14:15], v[120:121]
	v_accvgpr_read_b32 v18, a56
	v_accvgpr_read_b32 v19, a57
	v_mul_f64 v[14:15], v[96:97], v[32:33]
	v_accvgpr_read_b32 v22, a48
	v_accvgpr_read_b32 v23, a49
	s_waitcnt lgkmcnt(1)
	v_mul_f64 v[66:67], v[18:19], v[118:119]
	v_fma_f64 v[86:87], v[94:95], v[34:35], -v[14:15]
	v_mul_f64 v[14:15], v[18:19], v[116:117]
	v_mul_f64 v[82:83], v[108:109], v[30:31]
	v_accvgpr_read_b32 v21, a47
	s_waitcnt lgkmcnt(0)
	v_mul_f64 v[76:77], v[22:23], v[114:115]
	v_mul_f64 v[18:19], v[108:109], v[28:29]
	;; [unrolled: 1-line block ×3, first 2 shown]
	v_accvgpr_read_b32 v17, a55
	v_fmac_f64_e32 v[82:83], v[106:107], v[28:29]
	v_fmac_f64_e32 v[76:77], v[20:21], v[112:113]
	s_mov_b32 s26, 0xfd768dbf
	v_fma_f64 v[74:75], v[106:107], v[30:31], -v[18:19]
	v_mul_f64 v[18:19], v[22:23], v[112:113]
	v_mul_f64 v[60:61], v[92:93], v[38:39]
	v_accvgpr_read_b32 v13, a51
	v_fmac_f64_e32 v[70:71], v[94:95], v[32:33]
	v_fmac_f64_e32 v[66:67], v[16:17], v[116:117]
	s_mov_b32 s28, 0xf8bb580b
	v_add_f64 v[110:111], v[82:83], -v[76:77]
	s_mov_b32 s27, 0xbfd207e7
	v_fma_f64 v[72:73], v[20:21], v[114:115], -v[18:19]
	s_mov_b32 s24, 0x9bcd5057
	v_fmac_f64_e32 v[60:61], v[90:91], v[36:37]
	v_fmac_f64_e32 v[50:51], v[12:13], v[120:121]
	s_mov_b32 s22, 0xbb3a28a1
	v_add_f64 v[102:103], v[70:71], -v[66:67]
	s_mov_b32 s29, 0x3fe14ced
	v_fma_f64 v[78:79], v[16:17], v[118:119], -v[14:15]
	s_mov_b32 s20, 0x8764f0ba
	v_mul_f64 v[16:17], v[110:111], s[26:27]
	v_add_f64 v[88:89], v[74:75], v[72:73]
	s_mov_b32 s25, 0xbfeeb42a
	v_fmac_f64_e32 v[44:45], v[8:9], v[40:41]
	v_add_f64 v[100:101], v[60:61], -v[50:51]
	s_mov_b32 s23, 0xbfe82f19
	v_fma_f64 v[68:69], v[12:13], v[122:123], -v[10:11]
	s_mov_b32 s18, 0x7f775887
	v_mul_f64 v[12:13], v[102:103], s[28:29]
	v_add_f64 v[94:95], v[86:87], v[78:79]
	s_mov_b32 s21, 0x3feaeb8c
	v_fma_f64 v[18:19], s[24:25], v[88:89], v[16:17]
	v_add_f64 v[120:121], v[74:75], -v[72:73]
	s_mov_b32 s6, 0x43842ef
	v_add_f64 v[104:105], v[44:45], -v[46:47]
	s_mov_b32 s17, 0x3fed1bb4
	s_mov_b32 s16, 0x8eee2c13
	;; [unrolled: 1-line block ×3, first 2 shown]
	v_mul_f64 v[8:9], v[100:101], s[22:23]
	v_add_f64 v[92:93], v[80:81], v[68:69]
	s_mov_b32 s19, 0xbfe4f49e
	v_fma_f64 v[14:15], s[20:21], v[94:95], v[12:13]
	v_add_f64 v[18:19], v[26:27], v[18:19]
	v_add_f64 v[118:119], v[86:87], -v[78:79]
	v_add_f64 v[108:109], v[82:83], v[76:77]
	v_mul_f64 v[32:33], v[120:121], s[26:27]
	v_add_f64 v[124:125], v[52:53], -v[54:55]
	s_mov_b32 s7, 0xbfefac9e
	s_mov_b32 s2, 0x640f44db
	v_mul_f64 v[4:5], v[104:105], s[16:17]
	v_add_f64 v[84:85], v[62:63], v[58:59]
	s_mov_b32 s15, 0x3fda9628
	v_fma_f64 v[10:11], s[18:19], v[92:93], v[8:9]
	v_add_f64 v[14:15], v[14:15], v[18:19]
	v_add_f64 v[116:117], v[80:81], -v[68:69]
	v_add_f64 v[106:107], v[70:71], v[66:67]
	v_mul_f64 v[22:23], v[118:119], s[28:29]
	v_fma_f64 v[34:35], v[108:109], s[24:25], -v[32:33]
	v_mul_f64 v[0:1], v[124:125], s[6:7]
	v_add_f64 v[64:65], v[56:57], v[48:49]
	s_mov_b32 s3, 0xbfc2375f
	v_fma_f64 v[6:7], s[14:15], v[84:85], v[4:5]
	v_add_f64 v[10:11], v[10:11], v[14:15]
	v_add_f64 v[114:115], v[62:63], -v[58:59]
	v_mov_b32_e32 v140, v98
	v_add_f64 v[98:99], v[60:61], v[50:51]
	v_mul_f64 v[18:19], v[116:117], s[22:23]
	v_fma_f64 v[28:29], v[106:107], s[20:21], -v[22:23]
	v_add_f64 v[34:35], v[24:25], v[34:35]
	v_fma_f64 v[2:3], s[2:3], v[64:65], v[0:1]
	v_add_f64 v[6:7], v[6:7], v[10:11]
	v_add_f64 v[112:113], v[56:57], -v[48:49]
	v_add_f64 v[96:97], v[44:45], v[46:47]
	v_mul_f64 v[10:11], v[114:115], s[16:17]
	v_fma_f64 v[20:21], v[98:99], s[18:19], -v[18:19]
	v_add_f64 v[28:29], v[28:29], v[34:35]
	v_add_f64 v[30:31], v[2:3], v[6:7]
	;; [unrolled: 1-line block ×3, first 2 shown]
	v_mul_f64 v[2:3], v[112:113], s[6:7]
	v_fma_f64 v[14:15], v[96:97], s[14:15], -v[10:11]
	v_add_f64 v[20:21], v[20:21], v[28:29]
	v_fma_f64 v[6:7], v[90:91], s[2:3], -v[2:3]
	v_add_f64 v[14:15], v[14:15], v[20:21]
	v_add_f64 v[28:29], v[6:7], v[14:15]
	v_fma_f64 v[6:7], v[92:93], s[18:19], -v[8:9]
	v_fma_f64 v[8:9], v[94:95], s[20:21], -v[12:13]
	;; [unrolled: 1-line block ×3, first 2 shown]
	v_add_f64 v[12:13], v[26:27], v[12:13]
	v_add_f64 v[8:9], v[8:9], v[12:13]
	v_fma_f64 v[4:5], v[84:85], s[14:15], -v[4:5]
	v_add_f64 v[6:7], v[6:7], v[8:9]
	v_fma_f64 v[0:1], v[64:65], s[2:3], -v[0:1]
	v_add_f64 v[4:5], v[4:5], v[6:7]
	v_fmac_f64_e32 v[32:33], s[24:25], v[108:109]
	v_add_f64 v[34:35], v[0:1], v[4:5]
	v_fmac_f64_e32 v[22:23], s[20:21], v[106:107]
	;; [unrolled: 2-line block ×3, first 2 shown]
	v_add_f64 v[0:1], v[22:23], v[0:1]
	s_mov_b32 s35, 0x3fefac9e
	s_mov_b32 s34, s6
	v_mul_f64 v[16:17], v[110:111], s[22:23]
	v_add_f64 v[0:1], v[18:19], v[0:1]
	s_mov_b32 s31, 0xbfe14ced
	s_mov_b32 s30, s28
	v_mul_f64 v[12:13], v[102:103], s[34:35]
	v_fma_f64 v[18:19], s[18:19], v[88:89], v[16:17]
	v_fmac_f64_e32 v[10:11], s[14:15], v[96:97]
	v_mul_f64 v[8:9], v[100:101], s[30:31]
	v_fma_f64 v[14:15], s[2:3], v[94:95], v[12:13]
	v_add_f64 v[18:19], v[26:27], v[18:19]
	v_mul_f64 v[40:41], v[120:121], s[22:23]
	v_fmac_f64_e32 v[2:3], s[2:3], v[90:91]
	v_add_f64 v[0:1], v[10:11], v[0:1]
	v_mul_f64 v[4:5], v[104:105], s[26:27]
	v_fma_f64 v[10:11], s[20:21], v[92:93], v[8:9]
	v_add_f64 v[14:15], v[14:15], v[18:19]
	v_mul_f64 v[22:23], v[118:119], s[34:35]
	v_fma_f64 v[42:43], v[108:109], s[18:19], -v[40:41]
	v_add_f64 v[32:33], v[2:3], v[0:1]
	v_mul_f64 v[0:1], v[124:125], s[16:17]
	v_fma_f64 v[6:7], s[24:25], v[84:85], v[4:5]
	v_add_f64 v[10:11], v[10:11], v[14:15]
	v_mul_f64 v[18:19], v[116:117], s[30:31]
	v_fma_f64 v[36:37], v[106:107], s[2:3], -v[22:23]
	v_add_f64 v[42:43], v[24:25], v[42:43]
	v_fma_f64 v[2:3], s[14:15], v[64:65], v[0:1]
	v_add_f64 v[6:7], v[6:7], v[10:11]
	v_mul_f64 v[10:11], v[114:115], s[26:27]
	v_fma_f64 v[20:21], v[98:99], s[20:21], -v[18:19]
	v_add_f64 v[36:37], v[36:37], v[42:43]
	v_add_f64 v[38:39], v[2:3], v[6:7]
	v_mul_f64 v[2:3], v[112:113], s[16:17]
	v_fma_f64 v[14:15], v[96:97], s[24:25], -v[10:11]
	v_add_f64 v[20:21], v[20:21], v[36:37]
	v_fma_f64 v[6:7], v[90:91], s[14:15], -v[2:3]
	v_add_f64 v[14:15], v[14:15], v[20:21]
	v_add_f64 v[36:37], v[6:7], v[14:15]
	v_fma_f64 v[6:7], v[92:93], s[20:21], -v[8:9]
	v_fma_f64 v[8:9], v[94:95], s[2:3], -v[12:13]
	;; [unrolled: 1-line block ×3, first 2 shown]
	v_add_f64 v[12:13], v[26:27], v[12:13]
	v_add_f64 v[8:9], v[8:9], v[12:13]
	v_fma_f64 v[4:5], v[84:85], s[24:25], -v[4:5]
	v_add_f64 v[6:7], v[6:7], v[8:9]
	v_fma_f64 v[0:1], v[64:65], s[14:15], -v[0:1]
	v_add_f64 v[4:5], v[4:5], v[6:7]
	v_fmac_f64_e32 v[40:41], s[18:19], v[108:109]
	v_add_f64 v[42:43], v[0:1], v[4:5]
	v_fmac_f64_e32 v[22:23], s[2:3], v[106:107]
	;; [unrolled: 2-line block ×3, first 2 shown]
	v_add_f64 v[0:1], v[22:23], v[0:1]
	s_mov_b32 s37, 0x3fd207e7
	s_mov_b32 s36, s26
	v_mul_f64 v[16:17], v[110:111], s[6:7]
	v_add_f64 v[0:1], v[18:19], v[0:1]
	v_mul_f64 v[12:13], v[102:103], s[36:37]
	v_fma_f64 v[18:19], s[2:3], v[88:89], v[16:17]
	v_fma_f64 v[16:17], v[88:89], s[2:3], -v[16:17]
	v_fmac_f64_e32 v[10:11], s[24:25], v[96:97]
	v_mul_f64 v[8:9], v[100:101], s[16:17]
	v_fma_f64 v[14:15], s[24:25], v[94:95], v[12:13]
	v_fma_f64 v[12:13], v[94:95], s[24:25], -v[12:13]
	v_add_f64 v[16:17], v[26:27], v[16:17]
	v_fmac_f64_e32 v[2:3], s[14:15], v[90:91]
	v_add_f64 v[0:1], v[10:11], v[0:1]
	v_mul_f64 v[6:7], v[104:105], s[30:31]
	v_fma_f64 v[10:11], s[14:15], v[92:93], v[8:9]
	v_fma_f64 v[8:9], v[92:93], s[14:15], -v[8:9]
	v_add_f64 v[12:13], v[12:13], v[16:17]
	v_add_f64 v[40:41], v[2:3], v[0:1]
	v_mul_f64 v[4:5], v[124:125], s[22:23]
	v_fma_f64 v[2:3], s[20:21], v[84:85], v[6:7]
	v_mul_f64 v[128:129], v[120:121], s[6:7]
	v_fma_f64 v[6:7], v[84:85], s[20:21], -v[6:7]
	v_add_f64 v[8:9], v[8:9], v[12:13]
	v_fma_f64 v[0:1], s[18:19], v[64:65], v[4:5]
	v_add_f64 v[18:19], v[26:27], v[18:19]
	v_mul_f64 v[122:123], v[118:119], s[36:37]
	v_fma_f64 v[130:131], v[108:109], s[2:3], -v[128:129]
	v_fma_f64 v[4:5], v[64:65], s[18:19], -v[4:5]
	v_add_f64 v[6:7], v[6:7], v[8:9]
	v_fmac_f64_e32 v[128:129], s[2:3], v[108:109]
	v_add_f64 v[14:15], v[14:15], v[18:19]
	v_mul_f64 v[20:21], v[116:117], s[16:17]
	v_fma_f64 v[126:127], v[106:107], s[24:25], -v[122:123]
	v_add_f64 v[130:131], v[24:25], v[130:131]
	v_add_f64 v[6:7], v[4:5], v[6:7]
	v_fmac_f64_e32 v[122:123], s[24:25], v[106:107]
	v_add_f64 v[4:5], v[24:25], v[128:129]
	s_mov_b32 s17, 0xbfed1bb4
	v_add_f64 v[10:11], v[10:11], v[14:15]
	v_mul_f64 v[14:15], v[114:115], s[30:31]
	v_fma_f64 v[22:23], v[98:99], s[14:15], -v[20:21]
	v_add_f64 v[126:127], v[126:127], v[130:131]
	v_fmac_f64_e32 v[20:21], s[14:15], v[98:99]
	v_add_f64 v[4:5], v[122:123], v[4:5]
	v_mul_f64 v[122:123], v[110:111], s[16:17]
	v_add_f64 v[2:3], v[2:3], v[10:11]
	v_mul_f64 v[10:11], v[112:113], s[22:23]
	v_fma_f64 v[18:19], v[96:97], s[20:21], -v[14:15]
	v_add_f64 v[22:23], v[22:23], v[126:127]
	v_add_f64 v[4:5], v[20:21], v[4:5]
	v_mul_f64 v[20:21], v[102:103], s[22:23]
	v_fma_f64 v[126:127], s[14:15], v[88:89], v[122:123]
	v_fma_f64 v[122:123], v[88:89], s[14:15], -v[122:123]
	v_add_f64 v[2:3], v[0:1], v[2:3]
	v_fma_f64 v[0:1], v[90:91], s[18:19], -v[10:11]
	v_add_f64 v[18:19], v[18:19], v[22:23]
	v_fmac_f64_e32 v[14:15], s[20:21], v[96:97]
	v_mul_f64 v[16:17], v[100:101], s[36:37]
	v_fma_f64 v[22:23], s[18:19], v[94:95], v[20:21]
	v_fma_f64 v[20:21], v[94:95], s[18:19], -v[20:21]
	v_add_f64 v[122:123], v[26:27], v[122:123]
	v_add_f64 v[0:1], v[0:1], v[18:19]
	v_fmac_f64_e32 v[10:11], s[18:19], v[90:91]
	v_add_f64 v[4:5], v[14:15], v[4:5]
	v_mul_f64 v[14:15], v[104:105], s[34:35]
	v_fma_f64 v[18:19], s[24:25], v[92:93], v[16:17]
	v_fma_f64 v[16:17], v[92:93], s[24:25], -v[16:17]
	v_add_f64 v[20:21], v[20:21], v[122:123]
	v_add_f64 v[4:5], v[10:11], v[4:5]
	v_mul_f64 v[12:13], v[124:125], s[28:29]
	v_fma_f64 v[10:11], s[2:3], v[84:85], v[14:15]
	v_mul_f64 v[136:137], v[120:121], s[16:17]
	v_fma_f64 v[14:15], v[84:85], s[2:3], -v[14:15]
	v_add_f64 v[16:17], v[16:17], v[20:21]
	v_fma_f64 v[8:9], s[20:21], v[64:65], v[12:13]
	v_add_f64 v[126:127], v[26:27], v[126:127]
	v_mul_f64 v[132:133], v[118:119], s[22:23]
	v_fma_f64 v[138:139], v[108:109], s[14:15], -v[136:137]
	v_fma_f64 v[12:13], v[64:65], s[20:21], -v[12:13]
	v_add_f64 v[14:15], v[14:15], v[16:17]
	v_fmac_f64_e32 v[136:137], s[14:15], v[108:109]
	v_add_f64 v[22:23], v[22:23], v[126:127]
	v_mul_f64 v[128:129], v[116:117], s[36:37]
	v_fma_f64 v[134:135], v[106:107], s[18:19], -v[132:133]
	v_add_f64 v[14:15], v[12:13], v[14:15]
	v_fmac_f64_e32 v[132:133], s[18:19], v[106:107]
	v_add_f64 v[12:13], v[24:25], v[136:137]
	v_add_f64 v[18:19], v[18:19], v[22:23]
	v_mul_f64 v[22:23], v[114:115], s[34:35]
	v_fma_f64 v[130:131], v[98:99], s[24:25], -v[128:129]
	v_fmac_f64_e32 v[128:129], s[24:25], v[98:99]
	v_add_f64 v[12:13], v[132:133], v[12:13]
	v_add_f64 v[10:11], v[10:11], v[18:19]
	v_mul_f64 v[18:19], v[112:113], s[28:29]
	v_fma_f64 v[126:127], v[96:97], s[2:3], -v[22:23]
	v_fmac_f64_e32 v[22:23], s[2:3], v[96:97]
	v_add_f64 v[12:13], v[128:129], v[12:13]
	v_mul_f64 v[110:111], v[110:111], s[30:31]
	v_add_f64 v[10:11], v[8:9], v[10:11]
	v_fma_f64 v[8:9], v[90:91], s[20:21], -v[18:19]
	v_add_f64 v[138:139], v[24:25], v[138:139]
	v_fmac_f64_e32 v[18:19], s[20:21], v[90:91]
	v_add_f64 v[12:13], v[22:23], v[12:13]
	v_mul_f64 v[20:21], v[124:125], s[26:27]
	v_mul_f64 v[22:23], v[104:105], s[22:23]
	;; [unrolled: 1-line block ×3, first 2 shown]
	v_fma_f64 v[124:125], s[20:21], v[88:89], v[110:111]
	v_fma_f64 v[88:89], v[88:89], s[20:21], -v[110:111]
	v_add_f64 v[134:135], v[134:135], v[138:139]
	v_add_f64 v[12:13], v[18:19], v[12:13]
	v_fma_f64 v[18:19], s[18:19], v[84:85], v[22:23]
	v_mul_f64 v[100:101], v[100:101], s[6:7]
	v_fma_f64 v[22:23], v[84:85], s[18:19], -v[22:23]
	v_fma_f64 v[84:85], v[94:95], s[14:15], -v[102:103]
	v_add_f64 v[88:89], v[26:27], v[88:89]
	v_add_f64 v[130:131], v[130:131], v[134:135]
	v_fma_f64 v[16:17], s[24:25], v[64:65], v[20:21]
	v_fma_f64 v[20:21], v[64:65], s[24:25], -v[20:21]
	v_fma_f64 v[64:65], v[92:93], s[2:3], -v[100:101]
	v_add_f64 v[84:85], v[84:85], v[88:89]
	v_add_f64 v[126:127], v[126:127], v[130:131]
	v_mul_f64 v[120:121], v[120:121], s[30:31]
	v_add_f64 v[64:65], v[64:65], v[84:85]
	v_add_f64 v[8:9], v[8:9], v[126:127]
	v_fma_f64 v[126:127], v[108:109], s[20:21], -v[120:121]
	v_add_f64 v[22:23], v[22:23], v[64:65]
	v_fmac_f64_e32 v[120:121], s[20:21], v[108:109]
	v_add_f64 v[124:125], v[26:27], v[124:125]
	v_add_f64 v[126:127], v[24:25], v[126:127]
	;; [unrolled: 1-line block ×12, first 2 shown]
	v_fma_f64 v[122:123], s[14:15], v[94:95], v[102:103]
	v_add_f64 v[26:27], v[26:27], v[56:57]
	v_add_f64 v[24:25], v[24:25], v[52:53]
	v_fma_f64 v[104:105], s[2:3], v[92:93], v[100:101]
	v_add_f64 v[122:123], v[122:123], v[124:125]
	v_mul_f64 v[118:119], v[118:119], s[16:17]
	v_add_f64 v[26:27], v[26:27], v[48:49]
	v_add_f64 v[24:25], v[24:25], v[54:55]
	;; [unrolled: 1-line block ×3, first 2 shown]
	v_mul_f64 v[116:117], v[116:117], s[6:7]
	v_fma_f64 v[124:125], v[106:107], s[14:15], -v[118:119]
	v_fmac_f64_e32 v[118:119], s[14:15], v[106:107]
	v_add_f64 v[26:27], v[26:27], v[58:59]
	v_add_f64 v[24:25], v[24:25], v[46:47]
	;; [unrolled: 1-line block ×3, first 2 shown]
	v_mul_f64 v[104:105], v[112:113], s[26:27]
	v_mul_f64 v[112:113], v[114:115], s[22:23]
	v_fma_f64 v[122:123], v[98:99], s[2:3], -v[116:117]
	v_add_f64 v[124:125], v[124:125], v[126:127]
	v_fmac_f64_e32 v[116:117], s[2:3], v[98:99]
	v_add_f64 v[20:21], v[118:119], v[20:21]
	v_add_f64 v[26:27], v[26:27], v[68:69]
	v_add_f64 v[24:25], v[24:25], v[50:51]
	v_fma_f64 v[114:115], v[96:97], s[18:19], -v[112:113]
	v_add_f64 v[122:123], v[122:123], v[124:125]
	v_fmac_f64_e32 v[112:113], s[18:19], v[96:97]
	v_add_f64 v[20:21], v[116:117], v[20:21]
	v_add_f64 v[26:27], v[26:27], v[78:79]
	;; [unrolled: 1-line block ×4, first 2 shown]
	v_fma_f64 v[16:17], v[90:91], s[24:25], -v[104:105]
	v_add_f64 v[114:115], v[114:115], v[122:123]
	v_fmac_f64_e32 v[104:105], s[24:25], v[90:91]
	v_mov_b32_e32 v98, v140
	v_add_f64 v[20:21], v[112:113], v[20:21]
	v_add_f64 v[26:27], v[26:27], v[72:73]
	;; [unrolled: 1-line block ×5, first 2 shown]
	ds_write_b128 v156, v[24:27]
	ds_write_b128 v156, v[20:23] offset:2352
	ds_write_b128 v156, v[12:15] offset:4704
	;; [unrolled: 1-line block ×10, first 2 shown]
.LBB0_21:
	s_or_b64 exec, exec, s[0:1]
	s_waitcnt lgkmcnt(0)
	s_barrier
	ds_read_b128 v[0:3], v156
	v_accvgpr_read_b32 v6, a16
	v_mad_u64_u32 v[14:15], s[0:1], s10, v6, 0
	v_mov_b32_e32 v4, v15
	v_accvgpr_read_b32 v16, a26
	v_mad_u64_u32 v[4:5], s[0:1], s11, v6, v[4:5]
	v_accvgpr_read_b32 v18, a28
	v_accvgpr_read_b32 v19, a29
	v_mov_b32_e32 v15, v4
	ds_read_b128 v[4:7], v156 offset:3696
	v_accvgpr_read_b32 v17, a27
	s_waitcnt lgkmcnt(1)
	v_mul_f64 v[8:9], v[18:19], v[2:3]
	v_fmac_f64_e32 v[8:9], v[16:17], v[0:1]
	s_mov_b32 s0, 0x929a339d
	v_mul_f64 v[0:1], v[18:19], v[0:1]
	s_mov_b32 s1, 0x3f4443c2
	v_fma_f64 v[0:1], v[16:17], v[2:3], -v[0:1]
	v_mad_u64_u32 v[16:17], s[2:3], s8, v98, 0
	v_mul_f64 v[10:11], v[0:1], s[0:1]
	v_mov_b32_e32 v0, v17
	v_mad_u64_u32 v[0:1], s[2:3], s9, v98, v[0:1]
	v_mov_b32_e32 v17, v0
	ds_read_b128 v[0:3], v156 offset:8624
	v_mov_b32_e32 v12, s12
	v_mov_b32_e32 v13, s13
	v_lshl_add_u64 v[12:13], v[14:15], 4, v[12:13]
	v_accvgpr_read_b32 v21, a7
	v_mul_f64 v[8:9], v[8:9], s[0:1]
	v_lshl_add_u64 v[16:17], v[16:17], 4, v[12:13]
	v_accvgpr_read_b32 v20, a6
	global_store_dwordx4 v[16:17], v[8:11], off
	ds_read_b128 v[8:11], v156 offset:12320
	v_accvgpr_read_b32 v19, a5
	v_accvgpr_read_b32 v18, a4
	s_waitcnt lgkmcnt(1)
	v_mul_f64 v[12:13], v[20:21], v[2:3]
	v_fmac_f64_e32 v[12:13], v[18:19], v[0:1]
	v_mul_f64 v[0:1], v[20:21], v[0:1]
	v_fma_f64 v[0:1], v[18:19], v[2:3], -v[0:1]
	v_mul_f64 v[14:15], v[0:1], s[0:1]
	ds_read_b128 v[0:3], v156 offset:17248
	s_mul_i32 s2, s9, 0x21b
	s_mul_hi_u32 s3, s8, 0x21b
	s_add_i32 s3, s3, s2
	s_mul_i32 s2, s8, 0x21b
	s_lshl_b64 s[2:3], s[2:3], 4
	v_accvgpr_read_b32 v25, a11
	v_mul_f64 v[12:13], v[12:13], s[0:1]
	v_lshl_add_u64 v[20:21], v[16:17], 0, s[2:3]
	v_accvgpr_read_b32 v24, a10
	global_store_dwordx4 v[20:21], v[12:15], off
	ds_read_b128 v[12:15], v156 offset:20944
	v_accvgpr_read_b32 v23, a9
	v_accvgpr_read_b32 v22, a8
	s_waitcnt lgkmcnt(1)
	v_mul_f64 v[16:17], v[24:25], v[2:3]
	v_fmac_f64_e32 v[16:17], v[22:23], v[0:1]
	v_mul_f64 v[0:1], v[24:25], v[0:1]
	v_fma_f64 v[0:1], v[22:23], v[2:3], -v[0:1]
	v_mul_f64 v[16:17], v[16:17], s[0:1]
	v_mul_f64 v[18:19], v[0:1], s[0:1]
	v_lshl_add_u64 v[20:21], v[20:21], 0, s[2:3]
	global_store_dwordx4 v[20:21], v[16:19], off
	s_mul_hi_u32 s7, s8, 0xfffffcb1
	s_mul_i32 s6, s9, 0xfffffcb1
	v_accvgpr_read_b32 v19, a15
	v_accvgpr_read_b32 v18, a14
	;; [unrolled: 1-line block ×4, first 2 shown]
	v_mul_f64 v[0:1], v[18:19], v[6:7]
	v_mul_f64 v[2:3], v[18:19], v[4:5]
	s_sub_i32 s7, s7, s8
	v_fmac_f64_e32 v[0:1], v[16:17], v[4:5]
	v_fma_f64 v[2:3], v[16:17], v[6:7], -v[2:3]
	s_add_i32 s7, s7, s6
	s_mul_i32 s6, s8, 0xfffffcb1
	v_accvgpr_read_b32 v16, a18
	v_mul_f64 v[0:1], v[0:1], s[0:1]
	v_mul_f64 v[2:3], v[2:3], s[0:1]
	v_lshl_add_u64 v[4:5], s[6:7], 4, v[20:21]
	v_accvgpr_read_b32 v18, a20
	v_accvgpr_read_b32 v19, a21
	global_store_dwordx4 v[4:5], v[0:3], off
	v_accvgpr_read_b32 v17, a19
	v_lshl_add_u64 v[6:7], v[4:5], 0, s[2:3]
	v_mul_f64 v[0:1], v[18:19], v[10:11]
	v_mul_f64 v[2:3], v[18:19], v[8:9]
	v_fmac_f64_e32 v[0:1], v[16:17], v[8:9]
	v_fma_f64 v[2:3], v[16:17], v[10:11], -v[2:3]
	v_accvgpr_read_b32 v8, a22
	v_mul_f64 v[0:1], v[0:1], s[0:1]
	v_mul_f64 v[2:3], v[2:3], s[0:1]
	v_accvgpr_read_b32 v10, a24
	v_accvgpr_read_b32 v11, a25
	global_store_dwordx4 v[6:7], v[0:3], off
	v_accvgpr_read_b32 v9, a23
	s_waitcnt lgkmcnt(0)
	v_mul_f64 v[0:1], v[10:11], v[14:15]
	v_fmac_f64_e32 v[0:1], v[8:9], v[12:13]
	v_mul_f64 v[2:3], v[0:1], s[0:1]
	v_mul_f64 v[0:1], v[10:11], v[12:13]
	v_fma_f64 v[0:1], v[8:9], v[14:15], -v[0:1]
	v_mul_f64 v[4:5], v[0:1], s[0:1]
	v_lshl_add_u64 v[0:1], v[6:7], 0, s[2:3]
	global_store_dwordx4 v[0:1], v[2:5], off
	s_and_b64 exec, exec, s[4:5]
	s_cbranch_execz .LBB0_23
; %bb.22:
	v_add_co_u32_e32 v10, vcc, 0x1000, v200
	s_movk_i32 s4, 0x3000
	s_nop 0
	v_addc_co_u32_e32 v11, vcc, 0, v201, vcc
	v_add_co_u32_e32 v12, vcc, s4, v200
	s_movk_i32 s4, 0x6000
	s_nop 0
	v_addc_co_u32_e32 v13, vcc, 0, v201, vcc
	global_load_dwordx4 v[2:5], v[10:11], off offset:3296
	global_load_dwordx4 v[6:9], v[12:13], off offset:3728
	v_add_co_u32_e32 v10, vcc, s4, v200
	v_lshl_add_u64 v[26:27], s[6:7], 4, v[0:1]
	s_nop 0
	v_addc_co_u32_e32 v11, vcc, 0, v201, vcc
	global_load_dwordx4 v[10:13], v[10:11], off offset:64
	ds_read_b128 v[14:17], v156 offset:7392
	ds_read_b128 v[18:21], v156 offset:16016
	;; [unrolled: 1-line block ×3, first 2 shown]
	v_lshl_add_u64 v[28:29], v[26:27], 0, s[2:3]
	v_lshl_add_u64 v[30:31], v[28:29], 0, s[2:3]
	s_waitcnt vmcnt(2) lgkmcnt(2)
	v_mul_f64 v[0:1], v[16:17], v[4:5]
	v_mul_f64 v[4:5], v[14:15], v[4:5]
	s_waitcnt vmcnt(1) lgkmcnt(1)
	v_mul_f64 v[32:33], v[20:21], v[8:9]
	v_mul_f64 v[8:9], v[18:19], v[8:9]
	v_fmac_f64_e32 v[0:1], v[14:15], v[2:3]
	v_fma_f64 v[2:3], v[2:3], v[16:17], -v[4:5]
	v_fmac_f64_e32 v[32:33], v[18:19], v[6:7]
	s_waitcnt vmcnt(0) lgkmcnt(0)
	v_mul_f64 v[34:35], v[24:25], v[12:13]
	v_mul_f64 v[12:13], v[22:23], v[12:13]
	v_fma_f64 v[6:7], v[6:7], v[20:21], -v[8:9]
	v_fmac_f64_e32 v[34:35], v[22:23], v[10:11]
	v_fma_f64 v[10:11], v[10:11], v[24:25], -v[12:13]
	v_mul_f64 v[0:1], v[0:1], s[0:1]
	v_mul_f64 v[2:3], v[2:3], s[0:1]
	;; [unrolled: 1-line block ×6, first 2 shown]
	global_store_dwordx4 v[26:27], v[0:3], off
	global_store_dwordx4 v[28:29], v[4:7], off
	;; [unrolled: 1-line block ×3, first 2 shown]
.LBB0_23:
	s_endpgm
	.section	.rodata,"a",@progbits
	.p2align	6, 0x0
	.amdhsa_kernel bluestein_single_back_len1617_dim1_dp_op_CI_CI
		.amdhsa_group_segment_fixed_size 25872
		.amdhsa_private_segment_fixed_size 0
		.amdhsa_kernarg_size 104
		.amdhsa_user_sgpr_count 2
		.amdhsa_user_sgpr_dispatch_ptr 0
		.amdhsa_user_sgpr_queue_ptr 0
		.amdhsa_user_sgpr_kernarg_segment_ptr 1
		.amdhsa_user_sgpr_dispatch_id 0
		.amdhsa_user_sgpr_kernarg_preload_length 0
		.amdhsa_user_sgpr_kernarg_preload_offset 0
		.amdhsa_user_sgpr_private_segment_size 0
		.amdhsa_uses_dynamic_stack 0
		.amdhsa_enable_private_segment 0
		.amdhsa_system_sgpr_workgroup_id_x 1
		.amdhsa_system_sgpr_workgroup_id_y 0
		.amdhsa_system_sgpr_workgroup_id_z 0
		.amdhsa_system_sgpr_workgroup_info 0
		.amdhsa_system_vgpr_workitem_id 0
		.amdhsa_next_free_vgpr 364
		.amdhsa_next_free_sgpr 40
		.amdhsa_accum_offset 256
		.amdhsa_reserve_vcc 1
		.amdhsa_float_round_mode_32 0
		.amdhsa_float_round_mode_16_64 0
		.amdhsa_float_denorm_mode_32 3
		.amdhsa_float_denorm_mode_16_64 3
		.amdhsa_dx10_clamp 1
		.amdhsa_ieee_mode 1
		.amdhsa_fp16_overflow 0
		.amdhsa_tg_split 0
		.amdhsa_exception_fp_ieee_invalid_op 0
		.amdhsa_exception_fp_denorm_src 0
		.amdhsa_exception_fp_ieee_div_zero 0
		.amdhsa_exception_fp_ieee_overflow 0
		.amdhsa_exception_fp_ieee_underflow 0
		.amdhsa_exception_fp_ieee_inexact 0
		.amdhsa_exception_int_div_zero 0
	.end_amdhsa_kernel
	.text
.Lfunc_end0:
	.size	bluestein_single_back_len1617_dim1_dp_op_CI_CI, .Lfunc_end0-bluestein_single_back_len1617_dim1_dp_op_CI_CI
                                        ; -- End function
	.section	.AMDGPU.csdata,"",@progbits
; Kernel info:
; codeLenInByte = 16100
; NumSgprs: 46
; NumVgprs: 256
; NumAgprs: 108
; TotalNumVgprs: 364
; ScratchSize: 0
; MemoryBound: 0
; FloatMode: 240
; IeeeMode: 1
; LDSByteSize: 25872 bytes/workgroup (compile time only)
; SGPRBlocks: 5
; VGPRBlocks: 45
; NumSGPRsForWavesPerEU: 46
; NumVGPRsForWavesPerEU: 364
; AccumOffset: 256
; Occupancy: 1
; WaveLimiterHint : 1
; COMPUTE_PGM_RSRC2:SCRATCH_EN: 0
; COMPUTE_PGM_RSRC2:USER_SGPR: 2
; COMPUTE_PGM_RSRC2:TRAP_HANDLER: 0
; COMPUTE_PGM_RSRC2:TGID_X_EN: 1
; COMPUTE_PGM_RSRC2:TGID_Y_EN: 0
; COMPUTE_PGM_RSRC2:TGID_Z_EN: 0
; COMPUTE_PGM_RSRC2:TIDIG_COMP_CNT: 0
; COMPUTE_PGM_RSRC3_GFX90A:ACCUM_OFFSET: 63
; COMPUTE_PGM_RSRC3_GFX90A:TG_SPLIT: 0
	.text
	.p2alignl 6, 3212836864
	.fill 256, 4, 3212836864
	.type	__hip_cuid_96991ab51daa970,@object ; @__hip_cuid_96991ab51daa970
	.section	.bss,"aw",@nobits
	.globl	__hip_cuid_96991ab51daa970
__hip_cuid_96991ab51daa970:
	.byte	0                               ; 0x0
	.size	__hip_cuid_96991ab51daa970, 1

	.ident	"AMD clang version 19.0.0git (https://github.com/RadeonOpenCompute/llvm-project roc-6.4.0 25133 c7fe45cf4b819c5991fe208aaa96edf142730f1d)"
	.section	".note.GNU-stack","",@progbits
	.addrsig
	.addrsig_sym __hip_cuid_96991ab51daa970
	.amdgpu_metadata
---
amdhsa.kernels:
  - .agpr_count:     108
    .args:
      - .actual_access:  read_only
        .address_space:  global
        .offset:         0
        .size:           8
        .value_kind:     global_buffer
      - .actual_access:  read_only
        .address_space:  global
        .offset:         8
        .size:           8
        .value_kind:     global_buffer
      - .actual_access:  read_only
        .address_space:  global
        .offset:         16
        .size:           8
        .value_kind:     global_buffer
      - .actual_access:  read_only
        .address_space:  global
        .offset:         24
        .size:           8
        .value_kind:     global_buffer
      - .actual_access:  read_only
        .address_space:  global
        .offset:         32
        .size:           8
        .value_kind:     global_buffer
      - .offset:         40
        .size:           8
        .value_kind:     by_value
      - .address_space:  global
        .offset:         48
        .size:           8
        .value_kind:     global_buffer
      - .address_space:  global
        .offset:         56
        .size:           8
        .value_kind:     global_buffer
      - .address_space:  global
        .offset:         64
        .size:           8
        .value_kind:     global_buffer
      - .address_space:  global
        .offset:         72
        .size:           8
        .value_kind:     global_buffer
      - .offset:         80
        .size:           4
        .value_kind:     by_value
      - .address_space:  global
        .offset:         88
        .size:           8
        .value_kind:     global_buffer
      - .address_space:  global
        .offset:         96
        .size:           8
        .value_kind:     global_buffer
    .group_segment_fixed_size: 25872
    .kernarg_segment_align: 8
    .kernarg_segment_size: 104
    .language:       OpenCL C
    .language_version:
      - 2
      - 0
    .max_flat_workgroup_size: 231
    .name:           bluestein_single_back_len1617_dim1_dp_op_CI_CI
    .private_segment_fixed_size: 0
    .sgpr_count:     46
    .sgpr_spill_count: 0
    .symbol:         bluestein_single_back_len1617_dim1_dp_op_CI_CI.kd
    .uniform_work_group_size: 1
    .uses_dynamic_stack: false
    .vgpr_count:     364
    .vgpr_spill_count: 0
    .wavefront_size: 64
amdhsa.target:   amdgcn-amd-amdhsa--gfx950
amdhsa.version:
  - 1
  - 2
...

	.end_amdgpu_metadata
